;; amdgpu-corpus repo=ROCm/rocFFT kind=compiled arch=gfx906 opt=O3
	.text
	.amdgcn_target "amdgcn-amd-amdhsa--gfx906"
	.amdhsa_code_object_version 6
	.protected	fft_rtc_back_len3840_factors_10_6_2_2_2_2_2_2_wgs_128_tpt_128_halfLds_sp_ip_CI_unitstride_sbrr_C2R_dirReg ; -- Begin function fft_rtc_back_len3840_factors_10_6_2_2_2_2_2_2_wgs_128_tpt_128_halfLds_sp_ip_CI_unitstride_sbrr_C2R_dirReg
	.globl	fft_rtc_back_len3840_factors_10_6_2_2_2_2_2_2_wgs_128_tpt_128_halfLds_sp_ip_CI_unitstride_sbrr_C2R_dirReg
	.p2align	8
	.type	fft_rtc_back_len3840_factors_10_6_2_2_2_2_2_2_wgs_128_tpt_128_halfLds_sp_ip_CI_unitstride_sbrr_C2R_dirReg,@function
fft_rtc_back_len3840_factors_10_6_2_2_2_2_2_2_wgs_128_tpt_128_halfLds_sp_ip_CI_unitstride_sbrr_C2R_dirReg: ; @fft_rtc_back_len3840_factors_10_6_2_2_2_2_2_2_wgs_128_tpt_128_halfLds_sp_ip_CI_unitstride_sbrr_C2R_dirReg
; %bb.0:
	s_load_dwordx4 s[8:11], s[4:5], 0x0
	s_load_dwordx2 s[2:3], s[4:5], 0x50
	s_load_dwordx2 s[12:13], s[4:5], 0x18
	v_mov_b32_e32 v3, 0
	v_mov_b32_e32 v1, 0
	s_waitcnt lgkmcnt(0)
	v_cmp_lt_u64_e64 s[0:1], s[10:11], 2
	v_mov_b32_e32 v5, s6
	v_mov_b32_e32 v6, v3
	s_and_b64 vcc, exec, s[0:1]
	v_mov_b32_e32 v2, 0
	s_cbranch_vccnz .LBB0_8
; %bb.1:
	s_load_dwordx2 s[0:1], s[4:5], 0x10
	s_add_u32 s6, s12, 8
	s_addc_u32 s7, s13, 0
	v_mov_b32_e32 v1, 0
	v_mov_b32_e32 v2, 0
	s_waitcnt lgkmcnt(0)
	s_add_u32 s14, s0, 8
	s_addc_u32 s15, s1, 0
	s_mov_b64 s[16:17], 1
.LBB0_2:                                ; =>This Inner Loop Header: Depth=1
	s_load_dwordx2 s[18:19], s[14:15], 0x0
                                        ; implicit-def: $vgpr7_vgpr8
	s_waitcnt lgkmcnt(0)
	v_or_b32_e32 v4, s19, v6
	v_cmp_ne_u64_e32 vcc, 0, v[3:4]
	s_and_saveexec_b64 s[0:1], vcc
	s_xor_b64 s[20:21], exec, s[0:1]
	s_cbranch_execz .LBB0_4
; %bb.3:                                ;   in Loop: Header=BB0_2 Depth=1
	v_cvt_f32_u32_e32 v4, s18
	v_cvt_f32_u32_e32 v7, s19
	s_sub_u32 s0, 0, s18
	s_subb_u32 s1, 0, s19
	v_mac_f32_e32 v4, 0x4f800000, v7
	v_rcp_f32_e32 v4, v4
	v_mul_f32_e32 v4, 0x5f7ffffc, v4
	v_mul_f32_e32 v7, 0x2f800000, v4
	v_trunc_f32_e32 v7, v7
	v_mac_f32_e32 v4, 0xcf800000, v7
	v_cvt_u32_f32_e32 v7, v7
	v_cvt_u32_f32_e32 v4, v4
	v_mul_lo_u32 v8, s0, v7
	v_mul_hi_u32 v9, s0, v4
	v_mul_lo_u32 v11, s1, v4
	v_mul_lo_u32 v10, s0, v4
	v_add_u32_e32 v8, v9, v8
	v_add_u32_e32 v8, v8, v11
	v_mul_hi_u32 v9, v4, v10
	v_mul_lo_u32 v11, v4, v8
	v_mul_hi_u32 v13, v4, v8
	v_mul_hi_u32 v12, v7, v10
	v_mul_lo_u32 v10, v7, v10
	v_mul_hi_u32 v14, v7, v8
	v_add_co_u32_e32 v9, vcc, v9, v11
	v_addc_co_u32_e32 v11, vcc, 0, v13, vcc
	v_mul_lo_u32 v8, v7, v8
	v_add_co_u32_e32 v9, vcc, v9, v10
	v_addc_co_u32_e32 v9, vcc, v11, v12, vcc
	v_addc_co_u32_e32 v10, vcc, 0, v14, vcc
	v_add_co_u32_e32 v8, vcc, v9, v8
	v_addc_co_u32_e32 v9, vcc, 0, v10, vcc
	v_add_co_u32_e32 v4, vcc, v4, v8
	v_addc_co_u32_e32 v7, vcc, v7, v9, vcc
	v_mul_lo_u32 v8, s0, v7
	v_mul_hi_u32 v9, s0, v4
	v_mul_lo_u32 v10, s1, v4
	v_mul_lo_u32 v11, s0, v4
	v_add_u32_e32 v8, v9, v8
	v_add_u32_e32 v8, v8, v10
	v_mul_lo_u32 v12, v4, v8
	v_mul_hi_u32 v13, v4, v11
	v_mul_hi_u32 v14, v4, v8
	;; [unrolled: 1-line block ×3, first 2 shown]
	v_mul_lo_u32 v11, v7, v11
	v_mul_hi_u32 v9, v7, v8
	v_add_co_u32_e32 v12, vcc, v13, v12
	v_addc_co_u32_e32 v13, vcc, 0, v14, vcc
	v_mul_lo_u32 v8, v7, v8
	v_add_co_u32_e32 v11, vcc, v12, v11
	v_addc_co_u32_e32 v10, vcc, v13, v10, vcc
	v_addc_co_u32_e32 v9, vcc, 0, v9, vcc
	v_add_co_u32_e32 v8, vcc, v10, v8
	v_addc_co_u32_e32 v9, vcc, 0, v9, vcc
	v_add_co_u32_e32 v4, vcc, v4, v8
	v_addc_co_u32_e32 v9, vcc, v7, v9, vcc
	v_mad_u64_u32 v[7:8], s[0:1], v5, v9, 0
	v_mul_hi_u32 v10, v5, v4
	v_add_co_u32_e32 v11, vcc, v10, v7
	v_addc_co_u32_e32 v12, vcc, 0, v8, vcc
	v_mad_u64_u32 v[7:8], s[0:1], v6, v4, 0
	v_mad_u64_u32 v[9:10], s[0:1], v6, v9, 0
	v_add_co_u32_e32 v4, vcc, v11, v7
	v_addc_co_u32_e32 v4, vcc, v12, v8, vcc
	v_addc_co_u32_e32 v7, vcc, 0, v10, vcc
	v_add_co_u32_e32 v4, vcc, v4, v9
	v_addc_co_u32_e32 v9, vcc, 0, v7, vcc
	v_mul_lo_u32 v10, s19, v4
	v_mul_lo_u32 v11, s18, v9
	v_mad_u64_u32 v[7:8], s[0:1], s18, v4, 0
	v_add3_u32 v8, v8, v11, v10
	v_sub_u32_e32 v10, v6, v8
	v_mov_b32_e32 v11, s19
	v_sub_co_u32_e32 v7, vcc, v5, v7
	v_subb_co_u32_e64 v10, s[0:1], v10, v11, vcc
	v_subrev_co_u32_e64 v11, s[0:1], s18, v7
	v_subbrev_co_u32_e64 v10, s[0:1], 0, v10, s[0:1]
	v_cmp_le_u32_e64 s[0:1], s19, v10
	v_cndmask_b32_e64 v12, 0, -1, s[0:1]
	v_cmp_le_u32_e64 s[0:1], s18, v11
	v_cndmask_b32_e64 v11, 0, -1, s[0:1]
	v_cmp_eq_u32_e64 s[0:1], s19, v10
	v_cndmask_b32_e64 v10, v12, v11, s[0:1]
	v_add_co_u32_e64 v11, s[0:1], 2, v4
	v_addc_co_u32_e64 v12, s[0:1], 0, v9, s[0:1]
	v_add_co_u32_e64 v13, s[0:1], 1, v4
	v_addc_co_u32_e64 v14, s[0:1], 0, v9, s[0:1]
	v_subb_co_u32_e32 v8, vcc, v6, v8, vcc
	v_cmp_ne_u32_e64 s[0:1], 0, v10
	v_cmp_le_u32_e32 vcc, s19, v8
	v_cndmask_b32_e64 v10, v14, v12, s[0:1]
	v_cndmask_b32_e64 v12, 0, -1, vcc
	v_cmp_le_u32_e32 vcc, s18, v7
	v_cndmask_b32_e64 v7, 0, -1, vcc
	v_cmp_eq_u32_e32 vcc, s19, v8
	v_cndmask_b32_e32 v7, v12, v7, vcc
	v_cmp_ne_u32_e32 vcc, 0, v7
	v_cndmask_b32_e64 v7, v13, v11, s[0:1]
	v_cndmask_b32_e32 v8, v9, v10, vcc
	v_cndmask_b32_e32 v7, v4, v7, vcc
.LBB0_4:                                ;   in Loop: Header=BB0_2 Depth=1
	s_andn2_saveexec_b64 s[0:1], s[20:21]
	s_cbranch_execz .LBB0_6
; %bb.5:                                ;   in Loop: Header=BB0_2 Depth=1
	v_cvt_f32_u32_e32 v4, s18
	s_sub_i32 s20, 0, s18
	v_rcp_iflag_f32_e32 v4, v4
	v_mul_f32_e32 v4, 0x4f7ffffe, v4
	v_cvt_u32_f32_e32 v4, v4
	v_mul_lo_u32 v7, s20, v4
	v_mul_hi_u32 v7, v4, v7
	v_add_u32_e32 v4, v4, v7
	v_mul_hi_u32 v4, v5, v4
	v_mul_lo_u32 v7, v4, s18
	v_add_u32_e32 v8, 1, v4
	v_sub_u32_e32 v7, v5, v7
	v_subrev_u32_e32 v9, s18, v7
	v_cmp_le_u32_e32 vcc, s18, v7
	v_cndmask_b32_e32 v7, v7, v9, vcc
	v_cndmask_b32_e32 v4, v4, v8, vcc
	v_add_u32_e32 v8, 1, v4
	v_cmp_le_u32_e32 vcc, s18, v7
	v_cndmask_b32_e32 v7, v4, v8, vcc
	v_mov_b32_e32 v8, v3
.LBB0_6:                                ;   in Loop: Header=BB0_2 Depth=1
	s_or_b64 exec, exec, s[0:1]
	v_mul_lo_u32 v4, v8, s18
	v_mul_lo_u32 v11, v7, s19
	v_mad_u64_u32 v[9:10], s[0:1], v7, s18, 0
	s_load_dwordx2 s[0:1], s[6:7], 0x0
	s_add_u32 s16, s16, 1
	v_add3_u32 v4, v10, v11, v4
	v_sub_co_u32_e32 v5, vcc, v5, v9
	v_subb_co_u32_e32 v4, vcc, v6, v4, vcc
	s_waitcnt lgkmcnt(0)
	v_mul_lo_u32 v4, s0, v4
	v_mul_lo_u32 v6, s1, v5
	v_mad_u64_u32 v[1:2], s[0:1], s0, v5, v[1:2]
	s_addc_u32 s17, s17, 0
	s_add_u32 s6, s6, 8
	v_add3_u32 v2, v6, v2, v4
	v_mov_b32_e32 v4, s10
	v_mov_b32_e32 v5, s11
	s_addc_u32 s7, s7, 0
	v_cmp_ge_u64_e32 vcc, s[16:17], v[4:5]
	s_add_u32 s14, s14, 8
	s_addc_u32 s15, s15, 0
	s_cbranch_vccnz .LBB0_9
; %bb.7:                                ;   in Loop: Header=BB0_2 Depth=1
	v_mov_b32_e32 v5, v7
	v_mov_b32_e32 v6, v8
	s_branch .LBB0_2
.LBB0_8:
	v_mov_b32_e32 v8, v6
	v_mov_b32_e32 v7, v5
.LBB0_9:
	s_lshl_b64 s[0:1], s[10:11], 3
	s_add_u32 s0, s12, s0
	s_addc_u32 s1, s13, s1
	s_load_dwordx2 s[6:7], s[0:1], 0x0
	s_load_dwordx2 s[10:11], s[4:5], 0x20
	v_mov_b32_e32 v63, v0
	s_waitcnt lgkmcnt(0)
	v_mul_lo_u32 v3, s6, v8
	v_mul_lo_u32 v4, s7, v7
	v_mad_u64_u32 v[1:2], s[0:1], s6, v7, v[1:2]
	v_cmp_gt_u64_e64 s[0:1], s[10:11], v[7:8]
	v_add3_u32 v2, v4, v2, v3
	v_lshlrev_b64 v[61:62], 3, v[1:2]
	v_mov_b32_e32 v4, v1
	v_mov_b32_e32 v3, v0
	s_and_saveexec_b64 s[4:5], s[0:1]
	s_cbranch_execz .LBB0_13
; %bb.10:
	v_mov_b32_e32 v1, s3
	v_add_co_u32_e32 v2, vcc, s2, v61
	v_addc_co_u32_e32 v1, vcc, v1, v62, vcc
	v_lshlrev_b32_e32 v69, 3, v0
	v_add_co_u32_e32 v3, vcc, v2, v69
	v_addc_co_u32_e32 v4, vcc, 0, v1, vcc
	v_or_b32_e32 v5, 0x1000, v69
	v_add_co_u32_e32 v5, vcc, v2, v5
	v_or_b32_e32 v7, 0x1400, v69
	v_addc_co_u32_e32 v6, vcc, 0, v1, vcc
	v_add_co_u32_e32 v7, vcc, v2, v7
	v_or_b32_e32 v9, 0x1800, v69
	v_addc_co_u32_e32 v8, vcc, 0, v1, vcc
	;; [unrolled: 3-line block ×3, first 2 shown]
	global_load_dwordx2 v[11:12], v[3:4], off
	global_load_dwordx2 v[13:14], v[3:4], off offset:1024
	global_load_dwordx2 v[15:16], v[3:4], off offset:2048
	;; [unrolled: 1-line block ×3, first 2 shown]
	v_add_co_u32_e32 v3, vcc, v2, v70
	v_or_b32_e32 v19, 0x2000, v69
	v_addc_co_u32_e32 v4, vcc, 0, v1, vcc
	v_add_co_u32_e32 v19, vcc, v2, v19
	v_or_b32_e32 v21, 0x2400, v69
	v_addc_co_u32_e32 v20, vcc, 0, v1, vcc
	;; [unrolled: 3-line block ×3, first 2 shown]
	v_add_co_u32_e32 v23, vcc, v2, v23
	v_addc_co_u32_e32 v24, vcc, 0, v1, vcc
	global_load_dwordx2 v[25:26], v[5:6], off
	global_load_dwordx2 v[27:28], v[7:8], off
	;; [unrolled: 1-line block ×4, first 2 shown]
	v_or_b32_e32 v3, 0x2c00, v69
	v_add_co_u32_e32 v3, vcc, v2, v3
	v_or_b32_e32 v5, 0x3000, v69
	v_addc_co_u32_e32 v4, vcc, 0, v1, vcc
	v_add_co_u32_e32 v5, vcc, v2, v5
	v_or_b32_e32 v7, 0x3400, v69
	v_addc_co_u32_e32 v6, vcc, 0, v1, vcc
	;; [unrolled: 3-line block ×3, first 2 shown]
	global_load_dwordx2 v[9:10], v[19:20], off
	global_load_dwordx2 v[33:34], v[21:22], off
	global_load_dwordx2 v[35:36], v[23:24], off
	global_load_dwordx2 v[37:38], v[3:4], off
	v_add_co_u32_e32 v3, vcc, v2, v39
	v_addc_co_u32_e32 v4, vcc, 0, v1, vcc
	v_or_b32_e32 v71, 0x3c00, v69
	v_add_co_u32_e32 v19, vcc, v2, v71
	v_addc_co_u32_e32 v20, vcc, 0, v1, vcc
	global_load_dwordx2 v[21:22], v[5:6], off
	global_load_dwordx2 v[23:24], v[7:8], off
	global_load_dwordx2 v[39:40], v[3:4], off
	global_load_dwordx2 v[41:42], v[19:20], off
	v_or_b32_e32 v3, 0x4000, v69
	v_add_co_u32_e32 v3, vcc, v2, v3
	v_addc_co_u32_e32 v4, vcc, 0, v1, vcc
	v_or_b32_e32 v5, 0x4400, v69
	v_add_co_u32_e32 v5, vcc, v2, v5
	v_addc_co_u32_e32 v6, vcc, 0, v1, vcc
	v_or_b32_e32 v7, 0x4800, v69
	v_add_co_u32_e32 v7, vcc, v2, v7
	v_addc_co_u32_e32 v8, vcc, 0, v1, vcc
	v_or_b32_e32 v19, 0x4c00, v69
	v_add_co_u32_e32 v19, vcc, v2, v19
	v_addc_co_u32_e32 v20, vcc, 0, v1, vcc
	global_load_dwordx2 v[43:44], v[3:4], off
	global_load_dwordx2 v[45:46], v[5:6], off
	global_load_dwordx2 v[47:48], v[7:8], off
	global_load_dwordx2 v[49:50], v[19:20], off
	v_or_b32_e32 v3, 0x5000, v69
	v_add_co_u32_e32 v3, vcc, v2, v3
	v_addc_co_u32_e32 v4, vcc, 0, v1, vcc
	v_or_b32_e32 v5, 0x5400, v69
	v_add_co_u32_e32 v5, vcc, v2, v5
	v_addc_co_u32_e32 v6, vcc, 0, v1, vcc
	v_or_b32_e32 v7, 0x5800, v69
	;; [unrolled: 16-line block ×3, first 2 shown]
	v_add_co_u32_e32 v7, vcc, v2, v7
	v_addc_co_u32_e32 v8, vcc, 0, v1, vcc
	v_or_b32_e32 v19, 0x6c00, v69
	v_add_co_u32_e32 v19, vcc, v2, v19
	v_addc_co_u32_e32 v20, vcc, 0, v1, vcc
	global_load_dwordx2 v[59:60], v[3:4], off
	global_load_dwordx2 v[63:64], v[5:6], off
	;; [unrolled: 1-line block ×4, first 2 shown]
	v_or_b32_e32 v3, 0x7000, v69
	v_add_co_u32_e32 v3, vcc, v2, v3
	v_addc_co_u32_e32 v4, vcc, 0, v1, vcc
	v_or_b32_e32 v5, 0x7400, v69
	v_add_co_u32_e32 v5, vcc, v2, v5
	v_addc_co_u32_e32 v6, vcc, 0, v1, vcc
	global_load_dwordx2 v[7:8], v[3:4], off
	global_load_dwordx2 v[19:20], v[5:6], off
	v_add_u32_e32 v3, 0, v69
	v_add_u32_e32 v4, 0, v70
	s_waitcnt vmcnt(28)
	ds_write2st64_b64 v3, v[11:12], v[13:14] offset1:2
	s_waitcnt vmcnt(26)
	ds_write2st64_b64 v3, v[15:16], v[17:18] offset0:4 offset1:6
	s_waitcnt vmcnt(24)
	ds_write2st64_b64 v3, v[25:26], v[27:28] offset0:8 offset1:10
	s_waitcnt vmcnt(22)
	ds_write_b64 v4, v[31:32]
	s_waitcnt vmcnt(21)
	ds_write2st64_b64 v3, v[29:30], v[9:10] offset0:12 offset1:16
	s_waitcnt vmcnt(19)
	ds_write2st64_b64 v3, v[33:34], v[35:36] offset0:18 offset1:20
	;; [unrolled: 2-line block ×4, first 2 shown]
	v_add_u32_e32 v4, 0, v71
	s_waitcnt vmcnt(14)
	ds_write_b64 v4, v[41:42]
	s_waitcnt vmcnt(12)
	ds_write2st64_b64 v3, v[43:44], v[45:46] offset0:32 offset1:34
	s_waitcnt vmcnt(10)
	ds_write2st64_b64 v3, v[47:48], v[49:50] offset0:36 offset1:38
	;; [unrolled: 2-line block ×3, first 2 shown]
	v_add_u32_e32 v4, 0, v72
	s_waitcnt vmcnt(6)
	ds_write_b64 v4, v[57:58]
	s_waitcnt vmcnt(5)
	ds_write2st64_b64 v3, v[55:56], v[59:60] offset0:44 offset1:48
	s_waitcnt vmcnt(3)
	ds_write2st64_b64 v3, v[63:64], v[65:66] offset0:50 offset1:52
	;; [unrolled: 2-line block ×3, first 2 shown]
	s_waitcnt vmcnt(0)
	ds_write_b64 v3, v[19:20] offset:29696
	s_movk_i32 s6, 0x7f
	v_mov_b32_e32 v4, v1
	v_cmp_eq_u32_e32 vcc, s6, v0
	v_mov_b32_e32 v63, v0
	v_mov_b32_e32 v3, v0
	s_and_saveexec_b64 s[6:7], vcc
	s_cbranch_execz .LBB0_12
; %bb.11:
	v_add_co_u32_e32 v2, vcc, 0x7000, v2
	v_addc_co_u32_e32 v3, vcc, 0, v1, vcc
	global_load_dwordx2 v[1:2], v[2:3], off offset:2048
	v_mov_b32_e32 v5, 0
	v_mov_b32_e32 v3, 0x7f
	;; [unrolled: 1-line block ×4, first 2 shown]
	s_waitcnt vmcnt(0)
	ds_write_b64 v5, v[1:2] offset:30720
.LBB0_12:
	s_or_b64 exec, exec, s[6:7]
.LBB0_13:
	s_or_b64 exec, exec, s[4:5]
	v_lshlrev_b32_e32 v79, 3, v63
	v_add_u32_e32 v64, 0, v79
	s_waitcnt lgkmcnt(0)
	s_barrier
	v_sub_u32_e32 v4, 0, v79
	ds_read_b32 v5, v64
	ds_read_b32 v6, v4 offset:30720
	s_add_u32 s4, s8, 0x77b0
	s_addc_u32 s5, s9, 0
	v_cmp_ne_u32_e32 vcc, 0, v63
	v_lshlrev_b32_e32 v76, 3, v3
	s_waitcnt lgkmcnt(0)
	v_add_f32_e32 v1, v6, v5
	v_sub_f32_e32 v2, v5, v6
	s_and_saveexec_b64 s[6:7], vcc
	s_xor_b64 s[6:7], exec, s[6:7]
	s_cbranch_execz .LBB0_15
; %bb.14:
	global_load_dwordx2 v[7:8], v76, s[4:5]
	ds_read_b32 v1, v4 offset:30724
	ds_read_b32 v2, v64 offset:4
	v_add_f32_e32 v3, v6, v5
	v_sub_f32_e32 v9, v5, v6
	s_waitcnt lgkmcnt(0)
	v_add_f32_e32 v10, v1, v2
	v_sub_f32_e32 v1, v2, v1
	s_waitcnt vmcnt(0)
	v_fma_f32 v5, -v9, v8, v3
	v_fma_f32 v6, v10, v8, -v1
	v_fma_f32 v11, v9, v8, v3
	v_fma_f32 v2, v10, v8, v1
	v_fmac_f32_e32 v5, v7, v10
	v_fmac_f32_e32 v6, v9, v7
	v_fma_f32 v1, -v7, v10, v11
	v_fmac_f32_e32 v2, v9, v7
	ds_write_b64 v4, v[5:6] offset:30720
.LBB0_15:
	s_andn2_saveexec_b64 s[6:7], s[6:7]
	s_cbranch_execz .LBB0_17
; %bb.16:
	v_mov_b32_e32 v3, 0
	ds_read_b64 v[5:6], v3 offset:15360
	s_waitcnt lgkmcnt(0)
	v_add_f32_e32 v5, v5, v5
	v_mul_f32_e32 v6, -2.0, v6
	ds_write_b64 v3, v[5:6] offset:15360
.LBB0_17:
	s_or_b64 exec, exec, s[6:7]
	global_load_dwordx2 v[5:6], v79, s[4:5] offset:1024
	global_load_dwordx2 v[7:8], v79, s[4:5] offset:2048
	;; [unrolled: 1-line block ×3, first 2 shown]
	v_or_b32_e32 v87, 0x200, v63
	v_lshlrev_b32_e32 v75, 3, v87
	global_load_dwordx2 v[11:12], v75, s[4:5]
	v_or_b32_e32 v88, 0x280, v63
	ds_write_b64 v64, v[1:2]
	v_lshlrev_b32_e32 v77, 3, v88
	ds_read_b64 v[1:2], v64 offset:1024
	ds_read_b64 v[13:14], v4 offset:29696
	global_load_dwordx2 v[15:16], v77, s[4:5]
	v_or_b32_e32 v89, 0x300, v63
	v_lshlrev_b32_e32 v78, 3, v89
	v_or_b32_e32 v71, 0x380, v0
	s_waitcnt lgkmcnt(0)
	v_add_f32_e32 v3, v1, v13
	v_add_f32_e32 v17, v14, v2
	v_sub_f32_e32 v18, v1, v13
	v_sub_f32_e32 v1, v2, v14
	v_lshlrev_b32_e32 v66, 3, v71
	v_or_b32_e32 v80, 0x400, v63
	v_lshlrev_b32_e32 v67, 3, v80
	v_or_b32_e32 v81, 0x480, v63
	;; [unrolled: 2-line block ×3, first 2 shown]
	v_lshlrev_b32_e32 v69, 3, v82
	v_add_u32_e32 v65, 0, v66
	v_or_b32_e32 v83, 0x580, v63
	v_lshlrev_b32_e32 v72, 3, v83
	v_or_b32_e32 v84, 0x600, v63
	v_lshlrev_b32_e32 v70, 3, v84
	;; [unrolled: 2-line block ×4, first 2 shown]
	v_mul_u32_u24_e32 v118, 10, v63
	v_lshl_add_u32 v118, v118, 3, 0
	v_add_u32_e32 v119, 0x2800, v118
	s_movk_i32 s6, 0x78
	v_cmp_gt_u32_e32 vcc, s6, v63
	v_subrev_u32_e32 v0, 64, v0
	s_waitcnt vmcnt(4)
	v_fma_f32 v19, v18, v6, v3
	v_fma_f32 v2, v17, v6, v1
	v_fma_f32 v13, -v18, v6, v3
	v_fma_f32 v14, v17, v6, -v1
	v_fma_f32 v1, -v5, v17, v19
	v_fmac_f32_e32 v2, v18, v5
	v_fmac_f32_e32 v13, v5, v17
	v_fmac_f32_e32 v14, v18, v5
	ds_write_b64 v64, v[1:2] offset:1024
	ds_write_b64 v4, v[13:14] offset:29696
	ds_read_b64 v[1:2], v64 offset:2048
	ds_read_b64 v[5:6], v4 offset:28672
	global_load_dwordx2 v[13:14], v78, s[4:5]
	s_waitcnt lgkmcnt(0)
	v_add_f32_e32 v3, v1, v5
	v_add_f32_e32 v17, v6, v2
	v_sub_f32_e32 v18, v1, v5
	v_sub_f32_e32 v1, v2, v6
	s_waitcnt vmcnt(4)
	v_fma_f32 v19, v18, v8, v3
	v_fma_f32 v2, v17, v8, v1
	v_fma_f32 v5, -v18, v8, v3
	v_fma_f32 v6, v17, v8, -v1
	v_fma_f32 v1, -v7, v17, v19
	v_fmac_f32_e32 v2, v18, v7
	v_fmac_f32_e32 v5, v7, v17
	v_fmac_f32_e32 v6, v18, v7
	ds_write_b64 v64, v[1:2] offset:2048
	ds_write_b64 v4, v[5:6] offset:28672
	ds_read_b64 v[1:2], v64 offset:3072
	ds_read_b64 v[5:6], v4 offset:27648
	global_load_dwordx2 v[7:8], v66, s[4:5]
	s_waitcnt lgkmcnt(0)
	v_add_f32_e32 v3, v1, v5
	v_add_f32_e32 v17, v6, v2
	v_sub_f32_e32 v18, v1, v5
	v_sub_f32_e32 v1, v2, v6
	;; [unrolled: 19-line block ×4, first 2 shown]
	s_waitcnt vmcnt(4)
	v_fma_f32 v19, v18, v16, v3
	v_fma_f32 v6, v17, v16, v5
	v_fma_f32 v1, -v18, v16, v3
	v_fma_f32 v2, v17, v16, -v5
	v_fma_f32 v5, -v15, v17, v19
	v_fmac_f32_e32 v6, v18, v15
	v_fmac_f32_e32 v1, v15, v17
	;; [unrolled: 1-line block ×3, first 2 shown]
	ds_write_b64 v64, v[5:6] offset:5120
	ds_write_b64 v4, v[1:2] offset:25600
	ds_read_b64 v[1:2], v64 offset:6144
	ds_read_b64 v[5:6], v4 offset:24576
	s_waitcnt lgkmcnt(0)
	v_add_f32_e32 v3, v1, v5
	v_add_f32_e32 v15, v6, v2
	v_sub_f32_e32 v16, v1, v5
	v_sub_f32_e32 v5, v2, v6
	s_waitcnt vmcnt(3)
	v_fma_f32 v17, v16, v14, v3
	v_fma_f32 v6, v15, v14, v5
	v_fma_f32 v1, -v16, v14, v3
	v_fma_f32 v2, v15, v14, -v5
	v_fma_f32 v5, -v13, v15, v17
	v_fmac_f32_e32 v6, v16, v13
	v_fmac_f32_e32 v1, v13, v15
	;; [unrolled: 1-line block ×3, first 2 shown]
	ds_write_b64 v64, v[5:6] offset:6144
	ds_write_b64 v4, v[1:2] offset:24576
	global_load_dwordx2 v[1:2], v69, s[4:5]
	ds_read_b64 v[5:6], v65
	ds_read_b64 v[13:14], v4 offset:23552
	s_waitcnt lgkmcnt(0)
	v_add_f32_e32 v3, v5, v13
	v_add_f32_e32 v15, v14, v6
	v_sub_f32_e32 v16, v5, v13
	v_sub_f32_e32 v13, v6, v14
	s_waitcnt vmcnt(3)
	v_fma_f32 v17, v16, v8, v3
	v_fma_f32 v14, v15, v8, v13
	v_fma_f32 v5, -v16, v8, v3
	v_fma_f32 v6, v15, v8, -v13
	v_fma_f32 v13, -v7, v15, v17
	v_fmac_f32_e32 v14, v16, v7
	v_fmac_f32_e32 v5, v7, v15
	;; [unrolled: 1-line block ×3, first 2 shown]
	ds_write_b64 v65, v[13:14]
	ds_write_b64 v4, v[5:6] offset:23552
	global_load_dwordx2 v[5:6], v72, s[4:5]
	ds_read_b64 v[7:8], v64 offset:8192
	ds_read_b64 v[13:14], v4 offset:22528
	s_waitcnt lgkmcnt(0)
	v_add_f32_e32 v3, v7, v13
	v_sub_f32_e32 v17, v7, v13
	v_add_f32_e32 v15, v14, v8
	v_sub_f32_e32 v13, v8, v14
	s_waitcnt vmcnt(3)
	v_fma_f32 v16, v17, v10, v3
	v_fma_f32 v7, -v17, v10, v3
	v_fma_f32 v8, v15, v10, -v13
	v_fma_f32 v14, v15, v10, v13
	v_fma_f32 v13, -v9, v15, v16
	v_fmac_f32_e32 v7, v9, v15
	global_load_dwordx2 v[15:16], v70, s[4:5]
	v_fmac_f32_e32 v14, v17, v9
	v_fmac_f32_e32 v8, v17, v9
	ds_write_b64 v64, v[13:14] offset:8192
	ds_write_b64 v4, v[7:8] offset:22528
	ds_read_b64 v[7:8], v64 offset:9216
	ds_read_b64 v[9:10], v4 offset:21504
	global_load_dwordx2 v[13:14], v74, s[4:5]
	s_waitcnt lgkmcnt(0)
	v_add_f32_e32 v3, v7, v9
	v_add_f32_e32 v17, v10, v8
	v_sub_f32_e32 v18, v7, v9
	v_sub_f32_e32 v10, v8, v10
	s_waitcnt vmcnt(4)
	v_fma_f32 v7, v18, v12, v3
	v_fma_f32 v8, v17, v12, v10
	v_fma_f32 v7, -v11, v17, v7
	v_fma_f32 v9, -v18, v12, v3
	v_fma_f32 v10, v17, v12, -v10
	v_fmac_f32_e32 v8, v18, v11
	v_fmac_f32_e32 v9, v11, v17
	;; [unrolled: 1-line block ×3, first 2 shown]
	ds_write_b64 v64, v[7:8] offset:9216
	ds_write_b64 v4, v[9:10] offset:21504
	ds_read_b64 v[7:8], v64 offset:10240
	ds_read_b64 v[9:10], v4 offset:20480
	s_waitcnt lgkmcnt(0)
	v_add_f32_e32 v3, v7, v9
	v_add_f32_e32 v17, v10, v8
	v_sub_f32_e32 v18, v7, v9
	v_sub_f32_e32 v12, v8, v10
	global_load_dwordx2 v[7:8], v73, s[4:5]
	s_movk_i32 s5, 0x1e0
	s_movk_i32 s4, 0x3c0
	s_waitcnt vmcnt(4)
	v_fma_f32 v9, v18, v2, v3
	v_fma_f32 v10, v17, v2, v12
	v_fma_f32 v9, -v1, v17, v9
	v_fma_f32 v11, -v18, v2, v3
	v_fma_f32 v12, v17, v2, -v12
	v_fmac_f32_e32 v10, v18, v1
	v_fmac_f32_e32 v11, v1, v17
	v_fmac_f32_e32 v12, v18, v1
	ds_write_b64 v64, v[9:10] offset:10240
	ds_write_b64 v4, v[11:12] offset:20480
	ds_read_b64 v[1:2], v64 offset:11264
	ds_read_b64 v[9:10], v4 offset:19456
	s_waitcnt lgkmcnt(0)
	v_add_f32_e32 v3, v1, v9
	v_add_f32_e32 v11, v10, v2
	v_sub_f32_e32 v12, v1, v9
	v_sub_f32_e32 v10, v2, v10
	s_waitcnt vmcnt(3)
	v_fma_f32 v1, v12, v6, v3
	v_fma_f32 v2, v11, v6, v10
	v_fma_f32 v1, -v5, v11, v1
	v_fma_f32 v9, -v12, v6, v3
	v_fma_f32 v10, v11, v6, -v10
	v_fmac_f32_e32 v2, v12, v5
	v_fmac_f32_e32 v9, v5, v11
	v_fmac_f32_e32 v10, v12, v5
	ds_write_b64 v64, v[1:2] offset:11264
	ds_write_b64 v4, v[9:10] offset:19456
	ds_read_b64 v[1:2], v64 offset:12288
	ds_read_b64 v[5:6], v4 offset:18432
	s_waitcnt lgkmcnt(0)
	v_add_f32_e32 v3, v1, v5
	v_add_f32_e32 v9, v6, v2
	v_sub_f32_e32 v10, v1, v5
	v_sub_f32_e32 v6, v2, v6
	s_waitcnt vmcnt(2)
	v_fma_f32 v1, v10, v16, v3
	v_fma_f32 v2, v9, v16, v6
	v_fma_f32 v1, -v15, v9, v1
	v_fma_f32 v5, -v10, v16, v3
	v_fma_f32 v6, v9, v16, -v6
	v_fmac_f32_e32 v2, v10, v15
	v_fmac_f32_e32 v5, v15, v9
	v_fmac_f32_e32 v6, v10, v15
	ds_write_b64 v64, v[1:2] offset:12288
	ds_write_b64 v4, v[5:6] offset:18432
	ds_read_b64 v[1:2], v64 offset:13312
	ds_read_b64 v[5:6], v4 offset:17408
	s_waitcnt lgkmcnt(0)
	v_add_f32_e32 v3, v1, v5
	v_add_f32_e32 v9, v6, v2
	v_sub_f32_e32 v10, v1, v5
	v_sub_f32_e32 v6, v2, v6
	s_waitcnt vmcnt(1)
	v_fma_f32 v1, v10, v14, v3
	v_fma_f32 v2, v9, v14, v6
	v_fma_f32 v1, -v13, v9, v1
	v_fma_f32 v5, -v10, v14, v3
	v_fma_f32 v6, v9, v14, -v6
	v_fmac_f32_e32 v2, v10, v13
	v_fmac_f32_e32 v5, v13, v9
	v_fmac_f32_e32 v6, v10, v13
	ds_write_b64 v64, v[1:2] offset:13312
	ds_write_b64 v4, v[5:6] offset:17408
	ds_read_b64 v[1:2], v64 offset:14336
	ds_read_b64 v[5:6], v4 offset:16384
	s_waitcnt lgkmcnt(0)
	v_add_f32_e32 v3, v1, v5
	v_add_f32_e32 v9, v6, v2
	v_sub_f32_e32 v10, v1, v5
	v_sub_f32_e32 v6, v2, v6
	s_waitcnt vmcnt(0)
	v_fma_f32 v1, v10, v8, v3
	v_fma_f32 v2, v9, v8, v6
	v_fma_f32 v5, -v10, v8, v3
	v_fma_f32 v6, v9, v8, -v6
	v_fma_f32 v1, -v7, v9, v1
	v_fmac_f32_e32 v5, v7, v9
	v_fmac_f32_e32 v2, v10, v7
	;; [unrolled: 1-line block ×3, first 2 shown]
	ds_write_b64 v64, v[1:2] offset:14336
	ds_write_b64 v4, v[5:6] offset:16384
	s_waitcnt lgkmcnt(0)
	s_barrier
	s_barrier
	ds_read2st64_b64 v[1:4], v64 offset0:12 offset1:14
	ds_read2st64_b64 v[5:8], v64 offset0:24 offset1:26
	;; [unrolled: 1-line block ×9, first 2 shown]
	s_waitcnt lgkmcnt(7)
	v_sub_f32_e32 v17, v3, v7
	ds_read2st64_b64 v[21:24], v64 offset1:2
	s_waitcnt lgkmcnt(6)
	v_sub_f32_e32 v18, v11, v15
	v_add_f32_e32 v90, v17, v18
	v_sub_f32_e32 v17, v4, v8
	v_sub_f32_e32 v18, v12, v16
	v_add_f32_e32 v95, v17, v18
	s_waitcnt lgkmcnt(4)
	v_sub_f32_e32 v17, v41, v45
	s_waitcnt lgkmcnt(2)
	v_sub_f32_e32 v18, v53, v57
	v_add_f32_e32 v96, v17, v18
	v_sub_f32_e32 v17, v42, v46
	v_sub_f32_e32 v18, v54, v58
	v_add_f32_e32 v97, v17, v18
	v_add_f32_e32 v18, v46, v58
	;; [unrolled: 1-line block ×3, first 2 shown]
	s_waitcnt lgkmcnt(1)
	v_fma_f32 v101, -0.5, v18, v50
	v_fma_f32 v98, -0.5, v17, v49
	v_sub_f32_e32 v102, v41, v53
	v_mov_b32_e32 v18, v101
	v_sub_f32_e32 v99, v42, v54
	v_mov_b32_e32 v17, v98
	v_fmac_f32_e32 v18, 0x3f737871, v102
	v_sub_f32_e32 v103, v45, v57
	v_fmac_f32_e32 v17, 0xbf737871, v99
	v_sub_f32_e32 v100, v46, v58
	v_fmac_f32_e32 v18, 0x3f167918, v103
	v_fmac_f32_e32 v17, 0xbf167918, v100
	;; [unrolled: 1-line block ×4, first 2 shown]
	v_mul_f32_e32 v104, 0xbf167918, v18
	v_fmac_f32_e32 v104, 0x3f4f1bbd, v17
	v_mul_f32_e32 v105, 0x3f167918, v17
	s_waitcnt lgkmcnt(0)
	v_add_f32_e32 v17, v23, v3
	v_add_f32_e32 v17, v17, v7
	;; [unrolled: 1-line block ×5, first 2 shown]
	v_fma_f32 v107, -0.5, v17, v23
	v_add_f32_e32 v17, v24, v4
	v_add_f32_e32 v17, v17, v8
	;; [unrolled: 1-line block ×3, first 2 shown]
	v_sub_f32_e32 v113, v3, v11
	v_sub_f32_e32 v115, v7, v15
	;; [unrolled: 1-line block ×3, first 2 shown]
	v_add_f32_e32 v3, v3, v11
	v_add_f32_e32 v111, v17, v12
	;; [unrolled: 1-line block ×3, first 2 shown]
	v_sub_f32_e32 v15, v15, v11
	v_fma_f32 v11, -0.5, v3, v23
	v_add_f32_e32 v3, v4, v12
	v_fma_f32 v112, -0.5, v17, v24
	v_fmac_f32_e32 v24, -0.5, v3
	v_sub_f32_e32 v108, v4, v12
	v_sub_f32_e32 v3, v8, v4
	;; [unrolled: 1-line block ×3, first 2 shown]
	v_mov_b32_e32 v12, v24
	v_fmac_f32_e32 v12, 0xbf737871, v115
	v_fmac_f32_e32 v24, 0x3f737871, v115
	v_add_f32_e32 v3, v3, v4
	v_fmac_f32_e32 v12, 0x3f167918, v113
	v_fmac_f32_e32 v24, 0xbf167918, v113
	v_sub_f32_e32 v110, v8, v16
	v_add_f32_e32 v7, v7, v15
	v_mov_b32_e32 v15, v11
	v_fmac_f32_e32 v12, 0x3e9e377a, v3
	v_fmac_f32_e32 v24, 0x3e9e377a, v3
	v_sub_f32_e32 v3, v45, v41
	v_sub_f32_e32 v4, v57, v53
	v_fmac_f32_e32 v15, 0x3f737871, v110
	v_fmac_f32_e32 v11, 0xbf737871, v110
	v_add_f32_e32 v3, v3, v4
	v_add_f32_e32 v4, v41, v53
	v_fmac_f32_e32 v15, 0xbf167918, v108
	v_fmac_f32_e32 v11, 0x3f167918, v108
	v_fma_f32 v4, -0.5, v4, v49
	v_fmac_f32_e32 v15, 0x3e9e377a, v7
	v_fmac_f32_e32 v11, 0x3e9e377a, v7
	v_mov_b32_e32 v7, v4
	v_fmac_f32_e32 v7, 0x3f737871, v100
	v_fmac_f32_e32 v4, 0xbf737871, v100
	;; [unrolled: 1-line block ×6, first 2 shown]
	v_sub_f32_e32 v3, v46, v42
	v_sub_f32_e32 v8, v58, v54
	v_add_f32_e32 v3, v3, v8
	v_add_f32_e32 v8, v42, v54
	v_fma_f32 v8, -0.5, v8, v50
	v_mov_b32_e32 v16, v8
	v_add_f32_e32 v17, v49, v41
	v_fmac_f32_e32 v16, 0xbf737871, v103
	v_fmac_f32_e32 v8, 0x3f737871, v103
	v_add_f32_e32 v17, v17, v45
	v_fmac_f32_e32 v16, 0x3f167918, v102
	v_fmac_f32_e32 v8, 0xbf167918, v102
	;; [unrolled: 3-line block ×3, first 2 shown]
	v_add_f32_e32 v116, v17, v53
	v_add_f32_e32 v17, v50, v42
	v_mul_f32_e32 v23, 0xbf737871, v16
	v_mul_f32_e32 v16, 0x3e9e377a, v16
	;; [unrolled: 1-line block ×4, first 2 shown]
	v_fmac_f32_e32 v101, 0xbf737871, v102
	v_add_f32_e32 v17, v17, v46
	v_fmac_f32_e32 v23, 0x3e9e377a, v7
	v_fmac_f32_e32 v16, 0x3f737871, v7
	;; [unrolled: 1-line block ×6, first 2 shown]
	v_mov_b32_e32 v109, v107
	v_mov_b32_e32 v114, v112
	v_add_f32_e32 v17, v17, v58
	v_add_f32_e32 v3, v15, v23
	;; [unrolled: 1-line block ×5, first 2 shown]
	v_add_u32_e32 v45, 0x2810, v118
	v_fmac_f32_e32 v107, 0x3f737871, v108
	v_fmac_f32_e32 v112, 0xbf737871, v113
	v_fmac_f32_e32 v98, 0x3f167918, v100
	v_fmac_f32_e32 v101, 0x3e9e377a, v97
	v_fmac_f32_e32 v105, 0x3f4f1bbd, v18
	v_fmac_f32_e32 v109, 0xbf737871, v108
	v_fmac_f32_e32 v114, 0x3f737871, v113
	v_add_f32_e32 v117, v17, v54
	ds_read2st64_b64 v[17:20], v64 offset0:4 offset1:6
	ds_read2st64_b64 v[33:36], v64 offset0:16 offset1:18
	;; [unrolled: 1-line block ×5, first 2 shown]
	s_waitcnt lgkmcnt(0)
	s_barrier
	ds_write2_b64 v45, v[3:4], v[7:8] offset1:1
	v_fmac_f32_e32 v107, 0x3f167918, v110
	v_fmac_f32_e32 v112, 0xbf167918, v115
	;; [unrolled: 1-line block ×3, first 2 shown]
	v_mul_f32_e32 v45, 0xbf167918, v101
	v_mul_f32_e32 v46, 0xbf4f1bbd, v101
	v_fmac_f32_e32 v109, 0xbf167918, v110
	v_fmac_f32_e32 v114, 0x3f167918, v115
	v_fmac_f32_e32 v107, 0x3e9e377a, v90
	v_fmac_f32_e32 v112, 0x3e9e377a, v95
	v_fmac_f32_e32 v45, 0xbf4f1bbd, v98
	v_fmac_f32_e32 v46, 0x3f167918, v98
	v_fmac_f32_e32 v109, 0x3e9e377a, v90
	v_fmac_f32_e32 v114, 0x3e9e377a, v95
	v_sub_f32_e32 v3, v106, v116
	v_sub_f32_e32 v4, v111, v117
	v_add_f32_e32 v7, v107, v45
	v_add_f32_e32 v8, v112, v46
	v_add_u32_e32 v49, 0x2820, v118
	ds_write2_b64 v49, v[7:8], v[3:4] offset1:1
	v_sub_f32_e32 v3, v109, v104
	v_sub_f32_e32 v4, v114, v105
	;; [unrolled: 1-line block ×4, first 2 shown]
	v_add_u32_e32 v12, 0x2830, v118
	ds_write2_b64 v12, v[3:4], v[7:8] offset1:1
	v_sub_f32_e32 v3, v107, v45
	v_sub_f32_e32 v4, v112, v46
	;; [unrolled: 1-line block ×4, first 2 shown]
	v_add_u32_e32 v11, 0x2840, v118
	ds_write2_b64 v11, v[7:8], v[3:4] offset1:1
	v_add_f32_e32 v3, v51, v43
	v_add_f32_e32 v4, v52, v44
	;; [unrolled: 1-line block ×9, first 2 shown]
	v_sub_f32_e32 v3, v33, v37
	v_sub_f32_e32 v4, v25, v29
	v_add_f32_e32 v7, v47, v59
	v_sub_f32_e32 v8, v43, v47
	v_sub_f32_e32 v12, v47, v43
	v_sub_f32_e32 v16, v47, v59
	v_sub_f32_e32 v23, v44, v48
	v_sub_f32_e32 v47, v56, v60
	v_add_f32_e32 v53, v3, v4
	v_sub_f32_e32 v3, v34, v38
	v_sub_f32_e32 v4, v26, v30
	v_fma_f32 v15, -0.5, v15, v52
	v_add_f32_e32 v42, v43, v55
	v_sub_f32_e32 v43, v43, v55
	v_add_f32_e32 v54, v3, v4
	v_add_f32_e32 v23, v23, v47
	v_fma_f32 v47, -0.5, v7, v51
	v_mov_b32_e32 v4, v15
	v_sub_f32_e32 v41, v44, v56
	v_mov_b32_e32 v3, v47
	v_fmac_f32_e32 v4, 0x3f737871, v43
	v_sub_f32_e32 v11, v48, v60
	v_sub_f32_e32 v45, v55, v59
	v_fmac_f32_e32 v3, 0xbf737871, v41
	v_fmac_f32_e32 v4, 0x3f167918, v16
	v_add_f32_e32 v45, v8, v45
	v_fmac_f32_e32 v3, 0xbf167918, v11
	v_fmac_f32_e32 v4, 0x3e9e377a, v23
	v_sub_f32_e32 v46, v59, v55
	v_fmac_f32_e32 v3, 0x3e9e377a, v45
	v_mul_f32_e32 v55, 0xbf167918, v4
	v_sub_f32_e32 v24, v48, v44
	v_add_f32_e32 v44, v44, v56
	v_sub_f32_e32 v48, v60, v56
	v_fmac_f32_e32 v55, 0x3f4f1bbd, v3
	v_mul_f32_e32 v56, 0x3f167918, v3
	v_add_f32_e32 v3, v17, v33
	v_add_f32_e32 v3, v3, v37
	;; [unrolled: 1-line block ×5, first 2 shown]
	v_fma_f32 v58, -0.5, v3, v17
	v_add_f32_e32 v3, v18, v34
	v_add_f32_e32 v3, v3, v38
	;; [unrolled: 1-line block ×7, first 2 shown]
	ds_write2_b64 v119, v[91:92], v[93:94] offset1:1
	v_add_f32_e32 v91, v3, v26
	v_add_f32_e32 v3, v38, v30
	v_fma_f32 v92, -0.5, v3, v18
	v_sub_f32_e32 v59, v34, v26
	v_mov_b32_e32 v60, v58
	v_sub_f32_e32 v93, v33, v25
	v_mov_b32_e32 v94, v92
	v_fmac_f32_e32 v60, 0xbf737871, v59
	v_sub_f32_e32 v90, v38, v30
	v_fmac_f32_e32 v94, 0x3f737871, v93
	v_sub_f32_e32 v95, v37, v29
	v_fmac_f32_e32 v60, 0xbf167918, v90
	v_fmac_f32_e32 v94, 0x3f167918, v95
	v_sub_f32_e32 v29, v29, v25
	v_add_f32_e32 v25, v33, v25
	v_fmac_f32_e32 v56, 0x3f4f1bbd, v4
	v_fmac_f32_e32 v60, 0x3e9e377a, v53
	;; [unrolled: 1-line block ×3, first 2 shown]
	v_fma_f32 v17, -0.5, v25, v17
	v_add_f32_e32 v3, v57, v49
	v_add_f32_e32 v4, v91, v50
	;; [unrolled: 1-line block ×4, first 2 shown]
	v_add_u32_e32 v96, 0x5000, v118
	v_mov_b32_e32 v25, v17
	ds_write2_b64 v96, v[3:4], v[7:8] offset1:1
	v_sub_f32_e32 v8, v37, v33
	v_fmac_f32_e32 v25, 0x3f737871, v90
	v_fmac_f32_e32 v17, 0xbf737871, v90
	v_add_f32_e32 v8, v8, v29
	v_fmac_f32_e32 v25, 0xbf167918, v59
	v_fmac_f32_e32 v17, 0x3f167918, v59
	;; [unrolled: 1-line block ×4, first 2 shown]
	v_add_f32_e32 v8, v34, v26
	v_fmac_f32_e32 v18, -0.5, v8
	v_sub_f32_e32 v8, v38, v34
	v_sub_f32_e32 v26, v30, v26
	v_add_f32_e32 v8, v8, v26
	v_mov_b32_e32 v26, v18
	v_fmac_f32_e32 v52, -0.5, v44
	v_fmac_f32_e32 v26, 0xbf737871, v95
	v_fmac_f32_e32 v18, 0x3f737871, v95
	v_fma_f32 v4, -0.5, v42, v51
	v_mov_b32_e32 v7, v52
	v_fmac_f32_e32 v26, 0x3f167918, v93
	v_fmac_f32_e32 v18, 0xbf167918, v93
	;; [unrolled: 1-line block ×5, first 2 shown]
	v_add_f32_e32 v8, v12, v46
	v_mov_b32_e32 v12, v4
	v_fmac_f32_e32 v7, 0xbf737871, v16
	v_add_f32_e32 v3, v24, v48
	v_fmac_f32_e32 v52, 0xbf167918, v43
	v_fmac_f32_e32 v12, 0x3f737871, v11
	;; [unrolled: 1-line block ×8, first 2 shown]
	v_mul_f32_e32 v24, 0xbf737871, v52
	v_mul_f32_e32 v42, 0xbe9e377a, v52
	v_fmac_f32_e32 v12, 0x3e9e377a, v8
	v_fmac_f32_e32 v4, 0x3e9e377a, v8
	v_mul_f32_e32 v29, 0xbf737871, v7
	v_mul_f32_e32 v30, 0x3e9e377a, v7
	v_fmac_f32_e32 v15, 0xbf737871, v43
	v_fmac_f32_e32 v29, 0x3e9e377a, v12
	;; [unrolled: 1-line block ×7, first 2 shown]
	v_add_f32_e32 v3, v25, v29
	v_add_f32_e32 v4, v26, v30
	;; [unrolled: 1-line block ×4, first 2 shown]
	v_add_u32_e32 v12, 0x5010, v118
	v_fmac_f32_e32 v58, 0x3f737871, v59
	v_fmac_f32_e32 v92, 0xbf737871, v93
	;; [unrolled: 1-line block ×4, first 2 shown]
	ds_write2_b64 v12, v[3:4], v[7:8] offset1:1
	v_fmac_f32_e32 v58, 0x3f167918, v90
	v_fmac_f32_e32 v92, 0xbf167918, v95
	;; [unrolled: 1-line block ×3, first 2 shown]
	v_mul_f32_e32 v11, 0xbf167918, v15
	v_mul_f32_e32 v12, 0xbf4f1bbd, v15
	v_fmac_f32_e32 v58, 0x3e9e377a, v53
	v_fmac_f32_e32 v92, 0x3e9e377a, v54
	;; [unrolled: 1-line block ×4, first 2 shown]
	v_sub_f32_e32 v3, v57, v49
	v_sub_f32_e32 v4, v91, v50
	v_add_f32_e32 v7, v58, v11
	v_add_f32_e32 v8, v92, v12
	v_add_u32_e32 v15, 0x5020, v118
	ds_write2_b64 v15, v[7:8], v[3:4] offset1:1
	v_sub_f32_e32 v3, v60, v55
	v_sub_f32_e32 v4, v94, v56
	;; [unrolled: 1-line block ×4, first 2 shown]
	v_add_u32_e32 v15, 0x5030, v118
	ds_write2_b64 v15, v[3:4], v[7:8] offset1:1
	v_add_f32_e32 v3, v21, v1
	v_add_f32_e32 v3, v3, v5
	;; [unrolled: 1-line block ×4, first 2 shown]
	v_sub_f32_e32 v8, v6, v14
	v_sub_f32_e32 v15, v1, v5
	;; [unrolled: 1-line block ×3, first 2 shown]
	v_add_f32_e32 v23, v6, v14
	v_sub_f32_e32 v25, v2, v6
	v_sub_f32_e32 v6, v6, v2
	;; [unrolled: 1-line block ×3, first 2 shown]
	v_add_f32_e32 v29, v1, v9
	v_sub_f32_e32 v30, v1, v9
	v_add_f32_e32 v1, v2, v10
	v_add_f32_e32 v2, v3, v13
	;; [unrolled: 1-line block ×3, first 2 shown]
	v_sub_f32_e32 v5, v5, v13
	v_add_f32_e32 v3, v4, v14
	v_sub_f32_e32 v4, v9, v13
	v_sub_f32_e32 v13, v13, v9
	v_add_f32_e32 v9, v2, v9
	v_fma_f32 v23, -0.5, v23, v22
	v_fma_f32 v22, -0.5, v1, v22
	v_add_f32_e32 v1, v19, v35
	v_add_f32_e32 v2, v20, v36
	v_sub_f32_e32 v33, v10, v14
	v_sub_f32_e32 v14, v14, v10
	v_add_f32_e32 v10, v3, v10
	v_add_f32_e32 v1, v1, v39
	;; [unrolled: 1-line block ×4, first 2 shown]
	v_sub_f32_e32 v34, v35, v39
	v_add_f32_e32 v38, v40, v32
	v_sub_f32_e32 v41, v36, v40
	v_sub_f32_e32 v45, v27, v31
	;; [unrolled: 1-line block ×3, first 2 shown]
	v_add_f32_e32 v1, v1, v31
	v_add_f32_e32 v2, v2, v32
	v_add_f32_e32 v25, v25, v33
	v_add_f32_e32 v33, v34, v45
	v_add_f32_e32 v34, v41, v46
	v_fma_f32 v41, -0.5, v3, v19
	v_fma_f32 v38, -0.5, v38, v20
	;; [unrolled: 1-line block ×4, first 2 shown]
	v_sub_f32_e32 v29, v40, v32
	v_sub_f32_e32 v37, v39, v35
	;; [unrolled: 1-line block ×5, first 2 shown]
	v_add_f32_e32 v44, v35, v27
	v_sub_f32_e32 v35, v35, v27
	v_add_f32_e32 v36, v36, v28
	v_sub_f32_e32 v31, v31, v27
	v_sub_f32_e32 v32, v32, v28
	v_add_f32_e32 v27, v1, v27
	v_add_f32_e32 v28, v2, v28
	v_mov_b32_e32 v1, v41
	v_mov_b32_e32 v2, v38
	v_fmac_f32_e32 v1, 0xbf737871, v43
	v_fmac_f32_e32 v2, 0x3f737871, v35
	;; [unrolled: 1-line block ×4, first 2 shown]
	v_mov_b32_e32 v47, v7
	v_mov_b32_e32 v48, v23
	v_fmac_f32_e32 v1, 0x3e9e377a, v33
	v_fmac_f32_e32 v2, 0x3e9e377a, v34
	;; [unrolled: 1-line block ×4, first 2 shown]
	v_add_f32_e32 v15, v15, v4
	v_mul_f32_e32 v45, 0xbf167918, v2
	v_mul_f32_e32 v46, 0x3f167918, v1
	v_fmac_f32_e32 v47, 0xbf167918, v8
	v_fmac_f32_e32 v48, 0x3f167918, v5
	;; [unrolled: 1-line block ×6, first 2 shown]
	v_add_f32_e32 v1, v9, v27
	v_add_f32_e32 v2, v10, v28
	;; [unrolled: 1-line block ×4, first 2 shown]
	ds_write2_b64 v118, v[1:2], v[3:4] offset1:1
	v_add_f32_e32 v1, v16, v13
	v_mov_b32_e32 v13, v21
	v_fmac_f32_e32 v13, 0x3f737871, v8
	v_fmac_f32_e32 v21, 0xbf737871, v8
	;; [unrolled: 1-line block ×6, first 2 shown]
	v_add_f32_e32 v1, v6, v14
	v_mov_b32_e32 v6, v22
	v_fma_f32 v2, -0.5, v44, v19
	v_fmac_f32_e32 v6, 0xbf737871, v5
	v_fmac_f32_e32 v22, 0x3f737871, v5
	v_mov_b32_e32 v3, v2
	v_fma_f32 v4, -0.5, v36, v20
	v_fmac_f32_e32 v6, 0x3f167918, v30
	v_fmac_f32_e32 v22, 0xbf167918, v30
	;; [unrolled: 1-line block ×4, first 2 shown]
	v_mov_b32_e32 v14, v4
	v_fmac_f32_e32 v6, 0x3e9e377a, v1
	v_fmac_f32_e32 v22, 0x3e9e377a, v1
	v_add_f32_e32 v1, v37, v31
	v_fmac_f32_e32 v3, 0xbf167918, v43
	v_fmac_f32_e32 v2, 0x3f167918, v43
	;; [unrolled: 1-line block ×6, first 2 shown]
	v_add_f32_e32 v1, v40, v32
	v_fmac_f32_e32 v14, 0x3f167918, v35
	v_fmac_f32_e32 v4, 0xbf167918, v35
	;; [unrolled: 1-line block ×7, first 2 shown]
	v_mul_f32_e32 v16, 0xbf737871, v14
	v_mul_f32_e32 v14, 0x3e9e377a, v14
	;; [unrolled: 1-line block ×4, first 2 shown]
	v_fmac_f32_e32 v7, 0x3f737871, v26
	v_fmac_f32_e32 v23, 0xbf737871, v30
	;; [unrolled: 1-line block ×11, first 2 shown]
	v_mul_f32_e32 v5, 0xbf167918, v38
	v_mul_f32_e32 v8, 0xbf4f1bbd, v38
	v_add_f32_e32 v1, v13, v16
	v_add_f32_e32 v2, v6, v14
	;; [unrolled: 1-line block ×4, first 2 shown]
	v_fmac_f32_e32 v7, 0x3e9e377a, v15
	v_fmac_f32_e32 v23, 0x3e9e377a, v25
	;; [unrolled: 1-line block ×4, first 2 shown]
	ds_write2_b64 v118, v[1:2], v[3:4] offset0:2 offset1:3
	v_sub_f32_e32 v1, v9, v27
	v_sub_f32_e32 v2, v10, v28
	v_add_f32_e32 v3, v7, v5
	v_add_f32_e32 v4, v23, v8
	ds_write2_b64 v118, v[3:4], v[1:2] offset0:4 offset1:5
	v_sub_f32_e32 v1, v47, v45
	v_sub_f32_e32 v2, v48, v46
	v_sub_f32_e32 v3, v13, v16
	v_sub_f32_e32 v4, v6, v14
	ds_write2_b64 v118, v[1:2], v[3:4] offset0:6 offset1:7
	v_sub_f32_e32 v1, v21, v19
	v_sub_f32_e32 v2, v22, v20
	v_sub_f32_e32 v3, v7, v5
	v_sub_f32_e32 v4, v23, v8
	;; [unrolled: 5-line block ×3, first 2 shown]
	v_add_u32_e32 v5, 0x5040, v118
	v_or_b32_e32 v6, 0x80, v63
	ds_write2_b64 v5, v[1:2], v[3:4] offset1:1
	v_mul_lo_u16_e32 v1, 0xcd, v6
	v_lshrrev_b16_e32 v13, 11, v1
	v_mul_lo_u16_e32 v1, 10, v13
	v_sub_u16_e32 v14, v6, v1
	v_mov_b32_e32 v1, 5
	v_mul_u32_u24_sdwa v2, v14, v1 dst_sel:DWORD dst_unused:UNUSED_PAD src0_sel:BYTE_0 src1_sel:DWORD
	v_or_b32_e32 v16, 0x100, v63
	v_lshlrev_b32_e32 v17, 3, v2
	v_mul_u32_u24_e32 v11, 0x199a, v16
	v_mov_b32_e32 v2, 10
	v_mul_lo_u16_sdwa v3, v11, v2 dst_sel:DWORD dst_unused:UNUSED_PAD src0_sel:WORD_1 src1_sel:DWORD
	v_sub_u16_e32 v12, v16, v3
	v_or_b32_e32 v5, 0x180, v63
	v_mul_u32_u24_e32 v3, 5, v12
	v_mul_u32_u24_e32 v9, 0x199a, v5
	v_lshlrev_b32_e32 v15, 3, v3
	v_mul_lo_u16_sdwa v3, v9, v2 dst_sel:DWORD dst_unused:UNUSED_PAD src0_sel:WORD_1 src1_sel:DWORD
	v_sub_u16_e32 v10, v5, v3
	v_mul_u32_u24_e32 v3, 5, v10
	v_lshlrev_b32_e32 v25, 3, v3
	s_waitcnt lgkmcnt(0)
	s_barrier
	global_load_dwordx2 v[98:99], v25, s[8:9] offset:32
	v_mul_u32_u24_e32 v7, 0x199a, v87
	v_mul_lo_u16_sdwa v2, v7, v2 dst_sel:DWORD dst_unused:UNUSED_PAD src0_sel:WORD_1 src1_sel:DWORD
	v_sub_u16_e32 v8, v87, v2
	global_load_dwordx2 v[23:24], v17, s[8:9] offset:32
	v_mul_u32_u24_e32 v2, 5, v8
	v_lshlrev_b32_e32 v19, 3, v2
	global_load_dwordx2 v[102:103], v19, s[8:9] offset:32
	global_load_dwordx2 v[41:42], v15, s[8:9] offset:32
	v_mul_lo_u16_e32 v2, 0x67, v63
	v_lshrrev_b16_e32 v18, 10, v2
	v_mul_lo_u16_e32 v2, 10, v18
	v_sub_u16_e32 v47, v63, v2
	v_mul_u32_u24_sdwa v1, v47, v1 dst_sel:DWORD dst_unused:UNUSED_PAD src0_sel:BYTE_0 src1_sel:DWORD
	v_lshlrev_b32_e32 v34, 3, v1
	global_load_dwordx2 v[104:105], v34, s[8:9] offset:32
	global_load_dwordx4 v[1:4], v19, s[8:9] offset:16
	global_load_dwordx4 v[30:33], v25, s[8:9] offset:16
	;; [unrolled: 1-line block ×5, first 2 shown]
	global_load_dwordx4 v[56:59], v19, s[8:9]
	global_load_dwordx4 v[90:93], v25, s[8:9]
	;; [unrolled: 1-line block ×3, first 2 shown]
	ds_read2st64_b64 v[26:29], v64 offset0:56 offset1:58
	global_load_dwordx4 v[106:109], v34, s[8:9]
	ds_read2st64_b64 v[19:22], v64 offset0:52 offset1:54
	v_mul_u32_u24_sdwa v11, v11, s5 dst_sel:DWORD dst_unused:UNUSED_PAD src0_sel:WORD_1 src1_sel:DWORD
	v_lshlrev_b32_e32 v12, 3, v12
	s_waitcnt vmcnt(13) lgkmcnt(1)
	v_mul_f32_e32 v25, v27, v99
	v_mul_f32_e32 v15, v26, v99
	v_fmac_f32_e32 v25, v26, v98
	v_fma_f32 v26, v27, v98, -v15
	global_load_dwordx4 v[98:101], v17, s[8:9]
	s_waitcnt vmcnt(13) lgkmcnt(0)
	v_mul_f32_e32 v43, v20, v24
	v_fmac_f32_e32 v43, v19, v23
	v_mul_f32_e32 v19, v19, v24
	v_fma_f32 v45, v20, v23, -v19
	s_waitcnt vmcnt(11)
	v_mul_f32_e32 v35, v22, v42
	v_mul_f32_e32 v19, v21, v42
	v_fmac_f32_e32 v35, v21, v41
	v_fma_f32 v36, v22, v41, -v19
	ds_read2st64_b64 v[21:24], v64 offset0:48 offset1:50
	v_mul_f32_e32 v19, v28, v103
	v_mul_f32_e32 v15, v29, v103
	v_fma_f32 v17, v29, v102, -v19
	v_fmac_f32_e32 v15, v28, v102
	s_waitcnt vmcnt(10) lgkmcnt(0)
	v_mul_f32_e32 v60, v24, v105
	v_mul_f32_e32 v19, v23, v105
	v_fmac_f32_e32 v60, v23, v104
	v_fma_f32 v110, v24, v104, -v19
	ds_read2st64_b64 v[102:105], v64 offset0:36 offset1:38
	s_waitcnt vmcnt(9)
	v_mul_f32_e32 v20, v22, v4
	v_mul_f32_e32 v4, v21, v4
	v_fmac_f32_e32 v20, v21, v3
	v_fma_f32 v22, v22, v3, -v4
	s_waitcnt lgkmcnt(0)
	v_mul_f32_e32 v19, v105, v2
	v_mul_f32_e32 v2, v104, v2
	v_fmac_f32_e32 v19, v104, v1
	v_fma_f32 v21, v105, v1, -v2
	ds_read2st64_b64 v[1:4], v64 offset0:44 offset1:46
	s_waitcnt vmcnt(8)
	v_mul_f32_e32 v29, v103, v31
	v_mul_f32_e32 v23, v102, v31
	v_fmac_f32_e32 v29, v102, v30
	v_fma_f32 v30, v103, v30, -v23
	ds_read2st64_b64 v[102:105], v64 offset0:32 offset1:34
	s_waitcnt vmcnt(7) lgkmcnt(1)
	v_mul_f32_e32 v41, v2, v40
	v_mul_f32_e32 v31, v4, v33
	v_fmac_f32_e32 v41, v1, v39
	v_mul_f32_e32 v1, v1, v40
	v_fmac_f32_e32 v31, v3, v32
	v_mul_f32_e32 v3, v3, v33
	v_fma_f32 v42, v2, v39, -v1
	s_waitcnt lgkmcnt(0)
	v_mul_f32_e32 v1, v104, v38
	v_fma_f32 v32, v4, v32, -v3
	v_fma_f32 v40, v105, v37, -v1
	ds_read2st64_b64 v[1:4], v64 offset0:40 offset1:42
	v_mul_f32_e32 v39, v105, v38
	v_fmac_f32_e32 v39, v104, v37
	s_waitcnt vmcnt(6)
	v_mul_f32_e32 v104, v103, v49
	v_mul_f32_e32 v23, v102, v49
	v_fmac_f32_e32 v104, v102, v48
	v_fma_f32 v102, v103, v48, -v23
	s_waitcnt lgkmcnt(0)
	v_mul_f32_e32 v103, v4, v51
	v_fmac_f32_e32 v103, v3, v50
	v_mul_f32_e32 v3, v3, v51
	v_fma_f32 v105, v4, v50, -v3
	ds_read2st64_b64 v[48:51], v64 offset0:28 offset1:30
	s_waitcnt vmcnt(5)
	v_mul_f32_e32 v111, v2, v55
	v_fmac_f32_e32 v111, v1, v54
	v_mul_f32_e32 v1, v1, v55
	v_fma_f32 v54, v2, v54, -v1
	s_waitcnt lgkmcnt(0)
	v_mul_f32_e32 v55, v51, v53
	v_mul_f32_e32 v1, v50, v53
	v_fmac_f32_e32 v55, v50, v52
	v_fma_f32 v52, v51, v52, -v1
	ds_read2st64_b64 v[1:4], v64 offset0:16 offset1:18
	s_waitcnt vmcnt(4)
	v_mul_f32_e32 v27, v49, v59
	v_mul_f32_e32 v23, v48, v59
	v_fmac_f32_e32 v27, v48, v58
	v_fma_f32 v28, v49, v58, -v23
	ds_read2st64_b64 v[48:51], v64 offset0:24 offset1:26
	s_waitcnt vmcnt(3) lgkmcnt(1)
	v_mul_f32_e32 v33, v2, v91
	v_mul_f32_e32 v23, v4, v57
	v_fmac_f32_e32 v33, v1, v90
	v_mul_f32_e32 v1, v1, v91
	v_fmac_f32_e32 v23, v3, v56
	v_mul_f32_e32 v3, v3, v57
	v_fma_f32 v34, v2, v90, -v1
	s_waitcnt lgkmcnt(0)
	v_mul_f32_e32 v1, v50, v93
	v_fma_f32 v24, v4, v56, -v3
	v_fma_f32 v38, v51, v92, -v1
	ds_read2st64_b64 v[1:4], v64 offset0:12 offset1:14
	v_mul_f32_e32 v37, v51, v93
	s_waitcnt vmcnt(2)
	v_mul_f32_e32 v56, v49, v97
	v_mul_f32_e32 v44, v48, v97
	v_fmac_f32_e32 v37, v50, v92
	v_fmac_f32_e32 v56, v48, v96
	v_fma_f32 v57, v49, v96, -v44
	ds_read2st64_b64 v[48:51], v64 offset0:20 offset1:22
	s_waitcnt vmcnt(0) lgkmcnt(1)
	v_mul_f32_e32 v58, v2, v99
	v_mul_f32_e32 v44, v4, v95
	v_fmac_f32_e32 v58, v1, v98
	v_mul_f32_e32 v1, v1, v99
	v_fmac_f32_e32 v44, v3, v94
	v_mul_f32_e32 v3, v3, v95
	v_fma_f32 v59, v2, v98, -v1
	s_waitcnt lgkmcnt(0)
	v_mul_f32_e32 v1, v50, v101
	v_fma_f32 v46, v4, v94, -v3
	v_fma_f32 v91, v51, v100, -v1
	v_mul_f32_e32 v53, v49, v109
	ds_read2st64_b64 v[1:4], v64 offset0:8 offset1:10
	v_mul_f32_e32 v90, v51, v101
	v_fmac_f32_e32 v53, v48, v108
	v_mul_f32_e32 v48, v48, v109
	v_fmac_f32_e32 v90, v50, v100
	v_fma_f32 v92, v49, v108, -v48
	ds_read2st64_b64 v[48:51], v64 offset1:2
	s_waitcnt lgkmcnt(1)
	v_mul_f32_e32 v93, v107, v4
	v_fmac_f32_e32 v93, v106, v3
	v_mul_f32_e32 v3, v107, v3
	v_fma_f32 v94, v106, v4, -v3
	s_waitcnt lgkmcnt(0)
	v_add_f32_e32 v3, v49, v92
	v_add_f32_e32 v95, v3, v54
	v_sub_f32_e32 v96, v92, v54
	v_add_f32_e32 v3, v92, v54
	v_add_f32_e32 v4, v48, v53
	;; [unrolled: 1-line block ×5, first 2 shown]
	v_sub_f32_e32 v97, v53, v111
	v_add_f32_e32 v53, v93, v55
	v_fmac_f32_e32 v93, -0.5, v54
	v_add_f32_e32 v54, v94, v52
	v_sub_f32_e32 v99, v52, v110
	v_add_f32_e32 v52, v52, v110
	v_fmac_f32_e32 v94, -0.5, v52
	v_add_f32_e32 v100, v53, v60
	v_sub_f32_e32 v60, v55, v60
	v_mov_b32_e32 v53, v94
	v_mov_b32_e32 v52, v93
	v_fmac_f32_e32 v53, 0x3f5db3d7, v60
	v_fmac_f32_e32 v52, 0xbf5db3d7, v99
	v_mul_f32_e32 v101, 0xbf5db3d7, v53
	v_mul_f32_e32 v106, 0.5, v53
	v_fma_f32 v108, -0.5, v4, v48
	v_fma_f32 v49, -0.5, v3, v49
	v_add_f32_e32 v98, v54, v110
	v_fmac_f32_e32 v101, 0.5, v52
	v_fmac_f32_e32 v106, 0x3f5db3d7, v52
	v_mul_u32_u24_e32 v52, 0x1e0, v18
	v_mov_b32_e32 v18, 3
	v_mov_b32_e32 v109, v108
	;; [unrolled: 1-line block ×3, first 2 shown]
	v_lshlrev_b32_sdwa v47, v18, v47 dst_sel:DWORD dst_unused:UNUSED_PAD src0_sel:DWORD src1_sel:BYTE_0
	v_fmac_f32_e32 v109, 0xbf5db3d7, v96
	v_fmac_f32_e32 v110, 0x3f5db3d7, v97
	v_add3_u32 v107, 0, v52, v47
	v_add_f32_e32 v3, v92, v100
	v_add_f32_e32 v4, v95, v98
	;; [unrolled: 1-line block ×4, first 2 shown]
	v_fmac_f32_e32 v94, 0xbf5db3d7, v60
	ds_read2st64_b64 v[52:55], v64 offset0:4 offset1:6
	s_waitcnt lgkmcnt(0)
	s_barrier
	ds_write2_b64 v107, v[3:4], v[47:48] offset1:10
	v_sub_f32_e32 v3, v92, v100
	v_fmac_f32_e32 v93, 0x3f5db3d7, v99
	v_mul_f32_e32 v60, 0xbf5db3d7, v94
	v_mul_f32_e32 v92, -0.5, v94
	v_fmac_f32_e32 v108, 0x3f5db3d7, v96
	v_fmac_f32_e32 v49, 0xbf5db3d7, v97
	v_fmac_f32_e32 v60, -0.5, v93
	v_fmac_f32_e32 v92, 0x3f5db3d7, v93
	v_sub_f32_e32 v4, v95, v98
	v_add_f32_e32 v47, v108, v60
	v_add_f32_e32 v48, v49, v92
	ds_write2_b64 v107, v[47:48], v[3:4] offset0:20 offset1:30
	v_sub_f32_e32 v3, v109, v101
	v_sub_f32_e32 v4, v110, v106
	;; [unrolled: 1-line block ×4, first 2 shown]
	ds_write2_b64 v107, v[3:4], v[47:48] offset0:40 offset1:50
	v_add_f32_e32 v3, v51, v91
	v_add_f32_e32 v47, v3, v105
	;; [unrolled: 1-line block ×3, first 2 shown]
	v_fmac_f32_e32 v51, -0.5, v3
	v_add_f32_e32 v3, v50, v90
	v_add_f32_e32 v49, v3, v103
	;; [unrolled: 1-line block ×3, first 2 shown]
	v_sub_f32_e32 v60, v90, v103
	v_add_f32_e32 v90, v104, v43
	v_add_f32_e32 v4, v58, v104
	v_fmac_f32_e32 v58, -0.5, v90
	v_add_f32_e32 v90, v59, v102
	v_sub_f32_e32 v48, v91, v105
	v_add_f32_e32 v90, v90, v45
	v_sub_f32_e32 v91, v102, v45
	v_add_f32_e32 v45, v102, v45
	v_fmac_f32_e32 v59, -0.5, v45
	v_add_f32_e32 v45, v4, v43
	v_sub_f32_e32 v43, v104, v43
	v_mov_b32_e32 v92, v59
	v_mov_b32_e32 v4, v58
	v_fmac_f32_e32 v92, 0x3f5db3d7, v43
	v_fma_f32 v50, -0.5, v3, v50
	v_fmac_f32_e32 v4, 0xbf5db3d7, v91
	v_mul_f32_e32 v93, 0xbf5db3d7, v92
	v_mul_f32_e32 v92, 0.5, v92
	v_mov_b32_e32 v95, v50
	v_mov_b32_e32 v96, v51
	v_fmac_f32_e32 v93, 0.5, v4
	v_fmac_f32_e32 v92, 0x3f5db3d7, v4
	v_mul_u32_u24_e32 v4, 0x1e0, v13
	v_lshlrev_b32_sdwa v13, v18, v14 dst_sel:DWORD dst_unused:UNUSED_PAD src0_sel:DWORD src1_sel:BYTE_0
	v_fmac_f32_e32 v95, 0xbf5db3d7, v48
	v_fmac_f32_e32 v96, 0x3f5db3d7, v60
	v_add3_u32 v94, 0, v4, v13
	v_add_f32_e32 v3, v49, v45
	v_add_f32_e32 v4, v47, v90
	;; [unrolled: 1-line block ×4, first 2 shown]
	v_fmac_f32_e32 v59, 0xbf5db3d7, v43
	ds_write2_b64 v94, v[3:4], v[13:14] offset1:10
	v_sub_f32_e32 v3, v49, v45
	v_fmac_f32_e32 v58, 0x3f5db3d7, v91
	v_mul_f32_e32 v43, 0xbf5db3d7, v59
	v_mul_f32_e32 v45, -0.5, v59
	v_fmac_f32_e32 v50, 0x3f5db3d7, v48
	v_fmac_f32_e32 v51, 0xbf5db3d7, v60
	v_fmac_f32_e32 v43, -0.5, v58
	v_fmac_f32_e32 v45, 0x3f5db3d7, v58
	v_sub_f32_e32 v4, v47, v90
	v_add_f32_e32 v13, v50, v43
	v_add_f32_e32 v14, v51, v45
	ds_write2_b64 v94, v[13:14], v[3:4] offset0:20 offset1:30
	v_sub_f32_e32 v4, v51, v45
	v_add_f32_e32 v45, v39, v35
	v_sub_f32_e32 v3, v50, v43
	v_add_f32_e32 v43, v44, v39
	v_fmac_f32_e32 v44, -0.5, v45
	v_add_f32_e32 v45, v46, v40
	v_sub_f32_e32 v13, v95, v93
	v_sub_f32_e32 v14, v96, v92
	v_add_f32_e32 v45, v45, v36
	v_sub_f32_e32 v47, v40, v36
	v_add_f32_e32 v36, v40, v36
	ds_write2_b64 v94, v[13:14], v[3:4] offset0:40 offset1:50
	v_add_f32_e32 v3, v53, v57
	v_add_f32_e32 v4, v52, v56
	v_fmac_f32_e32 v46, -0.5, v36
	v_add_f32_e32 v13, v3, v42
	v_sub_f32_e32 v14, v57, v42
	v_add_f32_e32 v3, v57, v42
	v_add_f32_e32 v42, v4, v41
	;; [unrolled: 1-line block ×4, first 2 shown]
	v_sub_f32_e32 v35, v39, v35
	v_mov_b32_e32 v40, v46
	v_mov_b32_e32 v39, v44
	v_fmac_f32_e32 v40, 0x3f5db3d7, v35
	v_fma_f32 v48, -0.5, v4, v52
	v_fma_f32 v50, -0.5, v3, v53
	v_sub_f32_e32 v41, v56, v41
	v_fmac_f32_e32 v39, 0xbf5db3d7, v47
	v_mul_f32_e32 v43, 0xbf5db3d7, v40
	v_mul_f32_e32 v40, 0.5, v40
	v_mov_b32_e32 v49, v48
	v_mov_b32_e32 v51, v50
	v_fmac_f32_e32 v43, 0.5, v39
	v_fmac_f32_e32 v40, 0x3f5db3d7, v39
	v_fmac_f32_e32 v49, 0xbf5db3d7, v14
	;; [unrolled: 1-line block ×3, first 2 shown]
	v_add3_u32 v39, 0, v11, v12
	v_add_f32_e32 v3, v42, v36
	v_add_f32_e32 v4, v13, v45
	;; [unrolled: 1-line block ×4, first 2 shown]
	v_fmac_f32_e32 v46, 0xbf5db3d7, v35
	ds_write2_b64 v39, v[3:4], v[11:12] offset1:10
	v_sub_f32_e32 v4, v13, v45
	v_fmac_f32_e32 v48, 0x3f5db3d7, v14
	v_fmac_f32_e32 v44, 0x3f5db3d7, v47
	v_mul_f32_e32 v13, 0xbf5db3d7, v46
	v_mul_f32_e32 v14, -0.5, v46
	v_fmac_f32_e32 v50, 0xbf5db3d7, v41
	v_fmac_f32_e32 v13, -0.5, v44
	v_fmac_f32_e32 v14, 0x3f5db3d7, v44
	v_sub_f32_e32 v3, v42, v36
	v_add_f32_e32 v11, v48, v13
	v_add_f32_e32 v12, v50, v14
	ds_write2_b64 v39, v[11:12], v[3:4] offset0:20 offset1:30
	v_sub_f32_e32 v3, v49, v43
	v_sub_f32_e32 v4, v51, v40
	;; [unrolled: 1-line block ×4, first 2 shown]
	ds_write2_b64 v39, v[3:4], v[11:12] offset0:40 offset1:50
	v_add_f32_e32 v3, v55, v38
	v_add_f32_e32 v11, v3, v32
	;; [unrolled: 1-line block ×3, first 2 shown]
	v_fmac_f32_e32 v55, -0.5, v3
	v_add_f32_e32 v3, v54, v37
	v_add_f32_e32 v13, v3, v31
	;; [unrolled: 1-line block ×3, first 2 shown]
	v_sub_f32_e32 v14, v37, v31
	v_add_f32_e32 v31, v29, v25
	v_add_f32_e32 v4, v33, v29
	v_fmac_f32_e32 v33, -0.5, v31
	v_add_f32_e32 v31, v34, v30
	v_sub_f32_e32 v12, v38, v32
	v_add_f32_e32 v31, v31, v26
	v_sub_f32_e32 v32, v30, v26
	v_add_f32_e32 v26, v30, v26
	v_fmac_f32_e32 v34, -0.5, v26
	v_add_f32_e32 v26, v4, v25
	v_sub_f32_e32 v25, v29, v25
	v_mov_b32_e32 v29, v34
	v_mov_b32_e32 v4, v33
	v_fmac_f32_e32 v29, 0x3f5db3d7, v25
	v_fma_f32 v36, -0.5, v3, v54
	v_fmac_f32_e32 v4, 0xbf5db3d7, v32
	v_mul_f32_e32 v30, 0xbf5db3d7, v29
	v_mul_f32_e32 v29, 0.5, v29
	v_mov_b32_e32 v37, v36
	v_mov_b32_e32 v38, v55
	v_fmac_f32_e32 v30, 0.5, v4
	v_fmac_f32_e32 v29, 0x3f5db3d7, v4
	v_mul_u32_u24_sdwa v4, v9, s5 dst_sel:DWORD dst_unused:UNUSED_PAD src0_sel:WORD_1 src1_sel:DWORD
	v_lshlrev_b32_e32 v9, 3, v10
	v_fmac_f32_e32 v37, 0xbf5db3d7, v12
	v_fmac_f32_e32 v38, 0x3f5db3d7, v14
	v_add3_u32 v35, 0, v4, v9
	v_add_f32_e32 v3, v13, v26
	v_add_f32_e32 v4, v11, v31
	;; [unrolled: 1-line block ×4, first 2 shown]
	v_fmac_f32_e32 v34, 0xbf5db3d7, v25
	ds_write2_b64 v35, v[3:4], v[9:10] offset1:10
	v_sub_f32_e32 v4, v11, v31
	v_fmac_f32_e32 v36, 0x3f5db3d7, v12
	v_fmac_f32_e32 v33, 0x3f5db3d7, v32
	v_mul_f32_e32 v11, 0xbf5db3d7, v34
	v_mul_f32_e32 v12, -0.5, v34
	v_fmac_f32_e32 v55, 0xbf5db3d7, v14
	v_fmac_f32_e32 v11, -0.5, v33
	v_fmac_f32_e32 v12, 0x3f5db3d7, v33
	v_sub_f32_e32 v3, v13, v26
	v_add_f32_e32 v9, v36, v11
	v_add_f32_e32 v10, v55, v12
	ds_write2_b64 v35, v[9:10], v[3:4] offset0:20 offset1:30
	v_sub_f32_e32 v4, v55, v12
	v_sub_f32_e32 v3, v36, v11
	;; [unrolled: 1-line block ×4, first 2 shown]
	v_add_f32_e32 v13, v19, v15
	ds_write2_b64 v35, v[9:10], v[3:4] offset0:40 offset1:50
	v_add_f32_e32 v3, v2, v28
	v_add_f32_e32 v4, v23, v19
	v_fmac_f32_e32 v23, -0.5, v13
	v_add_f32_e32 v13, v24, v21
	v_add_f32_e32 v9, v3, v22
	;; [unrolled: 1-line block ×4, first 2 shown]
	v_sub_f32_e32 v14, v21, v17
	v_add_f32_e32 v17, v21, v17
	v_fmac_f32_e32 v2, -0.5, v3
	v_add_f32_e32 v3, v1, v27
	v_fmac_f32_e32 v24, -0.5, v17
	v_add_f32_e32 v11, v3, v20
	v_add_f32_e32 v3, v27, v20
	;; [unrolled: 1-line block ×3, first 2 shown]
	v_sub_f32_e32 v15, v19, v15
	v_mov_b32_e32 v19, v24
	v_mov_b32_e32 v4, v23
	v_fmac_f32_e32 v19, 0x3f5db3d7, v15
	v_fma_f32 v1, -0.5, v3, v1
	v_sub_f32_e32 v10, v28, v22
	v_sub_f32_e32 v12, v27, v20
	v_fmac_f32_e32 v4, 0xbf5db3d7, v14
	v_mul_f32_e32 v20, 0xbf5db3d7, v19
	v_mul_f32_e32 v19, 0.5, v19
	v_mov_b32_e32 v22, v1
	v_mov_b32_e32 v25, v2
	v_fmac_f32_e32 v20, 0.5, v4
	v_fmac_f32_e32 v19, 0x3f5db3d7, v4
	v_mul_u32_u24_sdwa v4, v7, s5 dst_sel:DWORD dst_unused:UNUSED_PAD src0_sel:WORD_1 src1_sel:DWORD
	v_lshlrev_b32_e32 v7, 3, v8
	v_fmac_f32_e32 v22, 0xbf5db3d7, v10
	v_fmac_f32_e32 v25, 0x3f5db3d7, v12
	v_add3_u32 v21, 0, v4, v7
	v_add_f32_e32 v3, v11, v17
	v_add_f32_e32 v4, v9, v13
	;; [unrolled: 1-line block ×4, first 2 shown]
	v_fmac_f32_e32 v24, 0xbf5db3d7, v15
	ds_write2_b64 v21, v[3:4], v[7:8] offset1:10
	v_sub_f32_e32 v4, v9, v13
	v_fmac_f32_e32 v1, 0x3f5db3d7, v10
	v_fmac_f32_e32 v23, 0x3f5db3d7, v14
	v_mul_f32_e32 v9, 0xbf5db3d7, v24
	v_mul_f32_e32 v10, -0.5, v24
	v_fmac_f32_e32 v2, 0xbf5db3d7, v12
	v_fmac_f32_e32 v9, -0.5, v23
	v_fmac_f32_e32 v10, 0x3f5db3d7, v23
	v_sub_f32_e32 v3, v11, v17
	v_add_f32_e32 v7, v1, v9
	v_add_f32_e32 v8, v2, v10
	ds_write2_b64 v21, v[7:8], v[3:4] offset0:20 offset1:30
	v_sub_f32_e32 v2, v2, v10
	v_sub_f32_e32 v1, v1, v9
	;; [unrolled: 1-line block ×4, first 2 shown]
	v_mov_b32_e32 v9, 60
	v_mul_u32_u24_e32 v59, 0x445, v5
	ds_write2_b64 v21, v[3:4], v[1:2] offset0:40 offset1:50
	v_mul_lo_u16_e32 v1, 0x89, v63
	v_mul_lo_u16_sdwa v3, v59, v9 dst_sel:DWORD dst_unused:UNUSED_PAD src0_sel:WORD_1 src1_sel:DWORD
	v_lshrrev_b16_e32 v7, 13, v1
	v_sub_u16_e32 v3, v5, v3
	v_mul_u32_u24_e32 v4, 0x445, v87
	v_mul_lo_u16_e32 v1, 60, v7
	v_mul_lo_u16_e32 v19, 0x89, v6
	v_lshlrev_b32_e32 v60, 3, v3
	v_mul_lo_u16_sdwa v3, v4, v9 dst_sel:DWORD dst_unused:UNUSED_PAD src0_sel:WORD_1 src1_sel:DWORD
	v_sub_u16_e32 v1, v63, v1
	v_lshrrev_b16_e32 v55, 13, v19
	v_sub_u16_e32 v3, v87, v3
	v_mul_u32_u24_e32 v17, 0x445, v88
	v_lshlrev_b32_sdwa v54, v18, v1 dst_sel:DWORD dst_unused:UNUSED_PAD src0_sel:DWORD src1_sel:BYTE_0
	v_mul_lo_u16_e32 v1, 60, v55
	v_lshlrev_b32_e32 v90, 3, v3
	v_mul_lo_u16_sdwa v3, v17, v9 dst_sel:DWORD dst_unused:UNUSED_PAD src0_sel:WORD_1 src1_sel:DWORD
	v_sub_u16_e32 v1, v6, v1
	v_mul_u32_u24_e32 v57, 0x445, v16
	v_sub_u16_e32 v3, v88, v3
	v_lshlrev_b32_sdwa v56, v18, v1 dst_sel:DWORD dst_unused:UNUSED_PAD src0_sel:DWORD src1_sel:BYTE_0
	v_mul_lo_u16_sdwa v1, v57, v9 dst_sel:DWORD dst_unused:UNUSED_PAD src0_sel:WORD_1 src1_sel:DWORD
	v_lshlrev_b32_e32 v91, 3, v3
	v_mul_u32_u24_e32 v3, 0x445, v89
	v_sub_u16_e32 v1, v16, v1
	v_mul_lo_u16_sdwa v8, v3, v9 dst_sel:DWORD dst_unused:UNUSED_PAD src0_sel:WORD_1 src1_sel:DWORD
	s_waitcnt lgkmcnt(0)
	s_barrier
	v_lshlrev_b32_e32 v58, 3, v1
	global_load_dwordx2 v[1:2], v54, s[8:9] offset:400
	v_sub_u16_e32 v8, v89, v8
	v_lshlrev_b32_e32 v92, 3, v8
	v_mul_u32_u24_e32 v8, 0x445, v71
	v_mul_lo_u16_sdwa v9, v8, v9 dst_sel:DWORD dst_unused:UNUSED_PAD src0_sel:WORD_1 src1_sel:DWORD
	v_mul_u32_u24_e32 v10, 0x889, v80
	global_load_dwordx2 v[28:29], v56, s[8:9] offset:400
	global_load_dwordx2 v[30:31], v58, s[8:9] offset:400
	;; [unrolled: 1-line block ×3, first 2 shown]
	v_sub_u16_e32 v9, v71, v9
	v_lshrrev_b32_e32 v94, 17, v10
	v_lshlrev_b32_e32 v93, 3, v9
	v_mul_lo_u16_e32 v9, 60, v94
	v_mul_u32_u24_e32 v12, 0x889, v81
	v_sub_u16_e32 v9, v80, v9
	v_lshrrev_b32_e32 v96, 17, v12
	v_lshlrev_b32_e32 v95, 3, v9
	v_mul_lo_u16_e32 v9, 60, v96
	global_load_dwordx2 v[34:35], v90, s[8:9] offset:400
	v_sub_u16_e32 v9, v81, v9
	v_lshlrev_b32_e32 v97, 3, v9
	v_mul_u32_u24_e32 v9, 0x889, v82
	v_lshrrev_b32_e32 v98, 17, v9
	global_load_dwordx2 v[36:37], v91, s[8:9] offset:400
	global_load_dwordx2 v[38:39], v92, s[8:9] offset:400
	;; [unrolled: 1-line block ×3, first 2 shown]
	v_mul_lo_u16_e32 v11, 60, v98
	v_sub_u16_e32 v11, v82, v11
	v_lshlrev_b32_e32 v99, 3, v11
	v_mul_u32_u24_e32 v11, 0x889, v83
	v_lshrrev_b32_e32 v100, 17, v11
	global_load_dwordx2 v[42:43], v95, s[8:9] offset:400
	global_load_dwordx2 v[44:45], v97, s[8:9] offset:400
	;; [unrolled: 1-line block ×3, first 2 shown]
	v_mul_lo_u16_e32 v13, 60, v100
	v_sub_u16_e32 v13, v83, v13
	v_lshlrev_b32_e32 v101, 3, v13
	global_load_dwordx2 v[48:49], v101, s[8:9] offset:400
	v_mul_u32_u24_e32 v13, 0x889, v84
	v_lshrrev_b32_e32 v102, 17, v13
	v_mul_lo_u16_e32 v14, 60, v102
	v_sub_u16_e32 v14, v84, v14
	v_lshlrev_b32_e32 v103, 3, v14
	v_mul_u32_u24_e32 v14, 0x889, v85
	v_lshrrev_b32_e32 v104, 17, v14
	v_mul_lo_u16_e32 v15, 60, v104
	global_load_dwordx2 v[50:51], v103, s[8:9] offset:400
	v_sub_u16_e32 v15, v85, v15
	v_lshlrev_b32_e32 v105, 3, v15
	global_load_dwordx2 v[52:53], v105, s[8:9] offset:400
	ds_read2st64_b64 v[20:23], v64 offset0:30 offset1:32
	ds_read2st64_b64 v[24:27], v64 offset0:34 offset1:36
	v_mul_u32_u24_e32 v15, 0x889, v86
	v_lshrrev_b32_e32 v130, 17, v15
	v_mul_u32_u24_e32 v7, 0x3c0, v7
	v_add3_u32 v7, 0, v7, v54
	v_lshrrev_b16_e32 v54, 14, v19
	v_mul_lo_u16_e32 v19, 0x78, v54
	v_sub_u16_e32 v19, v6, v19
	s_waitcnt vmcnt(13) lgkmcnt(1)
	v_mul_f32_e32 v106, v2, v21
	v_mul_f32_e32 v2, v2, v20
	v_fmac_f32_e32 v106, v1, v20
	v_fma_f32 v107, v1, v21, -v2
	s_waitcnt vmcnt(12)
	v_mul_f32_e32 v108, v29, v23
	v_mul_f32_e32 v1, v29, v22
	v_fmac_f32_e32 v108, v28, v22
	v_fma_f32 v109, v28, v23, -v1
	s_waitcnt vmcnt(11) lgkmcnt(0)
	v_mul_f32_e32 v1, v24, v31
	ds_read2st64_b64 v[20:23], v64 offset0:38 offset1:40
	v_mul_f32_e32 v110, v25, v31
	v_fma_f32 v111, v25, v30, -v1
	s_waitcnt vmcnt(10)
	v_mul_f32_e32 v112, v27, v33
	v_mul_f32_e32 v1, v26, v33
	v_fmac_f32_e32 v110, v24, v30
	v_fmac_f32_e32 v112, v26, v32
	v_fma_f32 v113, v27, v32, -v1
	ds_read2st64_b64 v[24:27], v64 offset0:42 offset1:44
	s_waitcnt vmcnt(9) lgkmcnt(1)
	v_mul_f32_e32 v1, v20, v35
	v_mul_f32_e32 v114, v21, v35
	v_fma_f32 v115, v21, v34, -v1
	s_waitcnt vmcnt(8)
	v_mul_f32_e32 v116, v23, v37
	v_mul_f32_e32 v1, v22, v37
	v_fmac_f32_e32 v114, v20, v34
	v_fmac_f32_e32 v116, v22, v36
	v_fma_f32 v117, v23, v36, -v1
	s_waitcnt vmcnt(7) lgkmcnt(0)
	v_mul_f32_e32 v1, v24, v39
	ds_read2st64_b64 v[20:23], v64 offset0:46 offset1:48
	v_mul_f32_e32 v118, v25, v39
	v_fma_f32 v119, v25, v38, -v1
	s_waitcnt vmcnt(6)
	v_mul_f32_e32 v120, v27, v41
	v_mul_f32_e32 v1, v26, v41
	v_fmac_f32_e32 v118, v24, v38
	v_fmac_f32_e32 v120, v26, v40
	v_fma_f32 v121, v27, v40, -v1
	ds_read2st64_b64 v[24:27], v64 offset0:50 offset1:52
	s_waitcnt vmcnt(5) lgkmcnt(1)
	v_mul_f32_e32 v1, v20, v43
	v_fma_f32 v123, v21, v42, -v1
	s_waitcnt vmcnt(4)
	v_mul_f32_e32 v1, v22, v45
	v_fma_f32 v125, v23, v44, -v1
	s_waitcnt vmcnt(3) lgkmcnt(0)
	v_mul_f32_e32 v1, v24, v47
	v_fma_f32 v127, v25, v46, -v1
	s_waitcnt vmcnt(2)
	v_mul_f32_e32 v1, v26, v49
	v_fma_f32 v129, v27, v48, -v1
	v_mul_lo_u16_e32 v1, 60, v130
	v_sub_u16_e32 v1, v86, v1
	v_lshlrev_b32_e32 v131, 3, v1
	global_load_dwordx2 v[1:2], v131, s[8:9] offset:400
	v_mul_f32_e32 v122, v21, v43
	v_mul_f32_e32 v124, v23, v45
	v_fmac_f32_e32 v122, v20, v42
	v_fmac_f32_e32 v124, v22, v44
	v_mul_f32_e32 v126, v25, v47
	v_mul_f32_e32 v128, v27, v49
	ds_read2st64_b64 v[20:23], v64 offset0:54 offset1:56
	v_fmac_f32_e32 v126, v24, v46
	v_fmac_f32_e32 v128, v26, v48
	ds_read2st64_b64 v[24:27], v64 offset1:2
	s_waitcnt vmcnt(2) lgkmcnt(1)
	v_mul_f32_e32 v132, v21, v51
	v_fmac_f32_e32 v132, v20, v50
	v_mul_f32_e32 v20, v20, v51
	s_waitcnt lgkmcnt(0)
	v_sub_f32_e32 v48, v24, v106
	v_sub_f32_e32 v49, v25, v107
	v_fma_f32 v133, v21, v50, -v20
	s_waitcnt vmcnt(1)
	v_mul_f32_e32 v134, v23, v53
	v_mul_f32_e32 v20, v22, v53
	v_fma_f32 v24, v24, 2.0, -v48
	v_fma_f32 v25, v25, 2.0, -v49
	v_fmac_f32_e32 v134, v22, v52
	v_fma_f32 v135, v23, v52, -v20
	ds_read_b64 v[50:51], v65
	ds_read_b64 v[52:53], v64 offset:29696
	ds_read2st64_b64 v[20:23], v64 offset0:4 offset1:6
	ds_read2st64_b64 v[28:31], v64 offset0:8 offset1:10
	;; [unrolled: 1-line block ×6, first 2 shown]
	s_waitcnt vmcnt(0) lgkmcnt(0)
	s_barrier
	ds_write2_b64 v7, v[24:25], v[48:49] offset1:60
	v_sub_f32_e32 v24, v26, v108
	v_sub_f32_e32 v25, v27, v109
	v_mul_u32_u24_e32 v7, 0x3c0, v55
	v_fma_f32 v26, v26, 2.0, -v24
	v_fma_f32 v27, v27, 2.0, -v25
	v_add3_u32 v7, 0, v7, v56
	ds_write2_b64 v7, v[26:27], v[24:25] offset1:60
	v_sub_f32_e32 v24, v20, v110
	v_sub_f32_e32 v25, v21, v111
	v_mul_u32_u24_sdwa v7, v57, s4 dst_sel:DWORD dst_unused:UNUSED_PAD src0_sel:WORD_1 src1_sel:DWORD
	v_add3_u32 v7, 0, v7, v58
	v_fma_f32 v20, v20, 2.0, -v24
	v_fma_f32 v21, v21, 2.0, -v25
	ds_write2_b64 v7, v[20:21], v[24:25] offset1:60
	v_sub_f32_e32 v20, v22, v112
	v_sub_f32_e32 v21, v23, v113
	v_mul_u32_u24_sdwa v7, v59, s4 dst_sel:DWORD dst_unused:UNUSED_PAD src0_sel:WORD_1 src1_sel:DWORD
	v_fma_f32 v22, v22, 2.0, -v20
	v_fma_f32 v23, v23, 2.0, -v21
	v_add3_u32 v7, 0, v7, v60
	ds_write2_b64 v7, v[22:23], v[20:21] offset1:60
	v_sub_f32_e32 v20, v28, v114
	v_sub_f32_e32 v21, v29, v115
	v_mul_u32_u24_sdwa v7, v4, s4 dst_sel:DWORD dst_unused:UNUSED_PAD src0_sel:WORD_1 src1_sel:DWORD
	v_add3_u32 v7, 0, v7, v90
	v_fma_f32 v22, v28, 2.0, -v20
	v_fma_f32 v23, v29, 2.0, -v21
	ds_write2_b64 v7, v[22:23], v[20:21] offset1:60
	v_sub_f32_e32 v20, v30, v116
	v_sub_f32_e32 v21, v31, v117
	v_mul_u32_u24_sdwa v7, v17, s4 dst_sel:DWORD dst_unused:UNUSED_PAD src0_sel:WORD_1 src1_sel:DWORD
	;; [unrolled: 14-line block ×3, first 2 shown]
	v_fma_f32 v22, v50, 2.0, -v20
	v_fma_f32 v23, v51, 2.0, -v21
	v_add3_u32 v7, 0, v7, v93
	ds_write2_b64 v7, v[22:23], v[20:21] offset1:60
	v_sub_f32_e32 v20, v34, v122
	v_sub_f32_e32 v21, v35, v123
	v_mul_u32_u24_e32 v7, 0x3c0, v94
	v_fma_f32 v22, v34, 2.0, -v20
	v_fma_f32 v23, v35, 2.0, -v21
	v_add3_u32 v7, 0, v7, v95
	ds_write2_b64 v7, v[22:23], v[20:21] offset1:60
	v_sub_f32_e32 v20, v36, v124
	v_sub_f32_e32 v21, v37, v125
	v_mul_u32_u24_e32 v7, 0x3c0, v96
	v_add3_u32 v7, 0, v7, v97
	v_fma_f32 v22, v36, 2.0, -v20
	v_fma_f32 v23, v37, 2.0, -v21
	ds_write2_b64 v7, v[22:23], v[20:21] offset1:60
	v_sub_f32_e32 v20, v38, v126
	v_sub_f32_e32 v21, v39, v127
	v_mul_u32_u24_e32 v7, 0x3c0, v98
	v_fma_f32 v22, v38, 2.0, -v20
	v_fma_f32 v23, v39, 2.0, -v21
	v_add3_u32 v7, 0, v7, v99
	ds_write2_b64 v7, v[22:23], v[20:21] offset1:60
	v_sub_f32_e32 v20, v40, v128
	v_sub_f32_e32 v21, v41, v129
	v_mul_u32_u24_e32 v7, 0x3c0, v100
	v_add3_u32 v7, 0, v7, v101
	v_fma_f32 v22, v40, 2.0, -v20
	v_fma_f32 v23, v41, 2.0, -v21
	;; [unrolled: 14-line block ×3, first 2 shown]
	ds_write2_b64 v7, v[22:23], v[20:21] offset1:60
	v_mul_f32_e32 v7, v53, v2
	v_mul_f32_e32 v2, v52, v2
	v_fmac_f32_e32 v7, v52, v1
	v_fma_f32 v2, v53, v1, -v2
	v_sub_f32_e32 v1, v46, v7
	v_sub_f32_e32 v2, v47, v2
	v_mul_u32_u24_e32 v7, 0x3c0, v130
	v_fma_f32 v20, v46, 2.0, -v1
	v_fma_f32 v21, v47, 2.0, -v2
	v_add3_u32 v7, 0, v7, v131
	ds_write2_b64 v7, v[20:21], v[1:2] offset1:60
	v_add_u32_e32 v1, 0xffffff88, v63
	v_cndmask_b32_e32 v1, v1, v63, vcc
	v_mov_b32_e32 v2, 0
	v_lshlrev_b64 v[20:21], 3, v[1:2]
	v_mov_b32_e32 v7, s9
	v_add_co_u32_e32 v20, vcc, s8, v20
	v_addc_co_u32_e32 v21, vcc, v7, v21, vcc
	s_waitcnt lgkmcnt(0)
	s_barrier
	global_load_dwordx2 v[22:23], v[20:21], off offset:880
	v_mul_u32_u24_e32 v56, 0x223, v16
	v_lshlrev_b32_sdwa v55, v18, v19 dst_sel:DWORD dst_unused:UNUSED_PAD src0_sel:DWORD src1_sel:BYTE_0
	global_load_dwordx2 v[26:27], v55, s[8:9] offset:880
	v_mul_lo_u16_sdwa v18, v56, s6 dst_sel:DWORD dst_unused:UNUSED_PAD src0_sel:WORD_1 src1_sel:DWORD
	v_sub_u16_e32 v16, v16, v18
	v_lshlrev_b32_e32 v57, 3, v16
	v_mul_u32_u24_e32 v16, 0x223, v5
	v_mul_lo_u16_sdwa v18, v16, s6 dst_sel:DWORD dst_unused:UNUSED_PAD src0_sel:WORD_1 src1_sel:DWORD
	v_sub_u16_e32 v18, v5, v18
	v_lshlrev_b32_e32 v58, 3, v18
	global_load_dwordx2 v[28:29], v57, s[8:9] offset:880
	global_load_dwordx2 v[30:31], v58, s[8:9] offset:880
	v_lshrrev_b32_e32 v59, 17, v4
	v_mul_lo_u16_e32 v18, 0x78, v59
	v_sub_u16_e32 v18, v87, v18
	v_lshrrev_b32_e32 v90, 17, v17
	v_lshlrev_b32_e32 v60, 3, v18
	v_mul_lo_u16_e32 v18, 0x78, v90
	v_sub_u16_e32 v18, v88, v18
	v_lshrrev_b32_e32 v92, 17, v3
	v_lshlrev_b32_e32 v91, 3, v18
	global_load_dwordx2 v[32:33], v60, s[8:9] offset:880
	global_load_dwordx2 v[34:35], v91, s[8:9] offset:880
	v_mul_lo_u16_e32 v18, 0x78, v92
	v_sub_u16_e32 v18, v89, v18
	v_lshrrev_b32_e32 v94, 17, v8
	v_lshlrev_b32_e32 v93, 3, v18
	global_load_dwordx2 v[36:37], v93, s[8:9] offset:880
	v_mul_lo_u16_e32 v18, 0x78, v94
	v_sub_u16_e32 v18, v71, v18
	v_lshrrev_b32_e32 v96, 18, v10
	v_lshlrev_b32_e32 v95, 3, v18
	;; [unrolled: 5-line block ×3, first 2 shown]
	v_mul_lo_u16_e32 v18, 0x78, v98
	v_sub_u16_e32 v18, v81, v18
	v_lshrrev_b32_e32 v100, 18, v9
	v_lshlrev_b32_e32 v99, 3, v18
	v_mul_lo_u16_e32 v18, 0x78, v100
	global_load_dwordx2 v[40:41], v97, s[8:9] offset:880
	global_load_dwordx2 v[42:43], v99, s[8:9] offset:880
	v_sub_u16_e32 v18, v82, v18
	v_lshlrev_b32_e32 v101, 3, v18
	global_load_dwordx2 v[44:45], v101, s[8:9] offset:880
	v_lshrrev_b32_e32 v102, 18, v11
	v_mul_lo_u16_e32 v18, 0x78, v102
	v_sub_u16_e32 v18, v83, v18
	v_lshlrev_b32_e32 v103, 3, v18
	global_load_dwordx2 v[46:47], v103, s[8:9] offset:880
	v_lshrrev_b32_e32 v104, 18, v13
	v_mul_lo_u16_e32 v18, 0x78, v104
	v_sub_u16_e32 v18, v84, v18
	v_lshrrev_b32_e32 v106, 18, v14
	v_lshlrev_b32_e32 v105, 3, v18
	v_mul_lo_u16_e32 v18, 0x78, v106
	v_sub_u16_e32 v18, v85, v18
	v_lshlrev_b32_e32 v107, 3, v18
	ds_read2st64_b64 v[18:21], v64 offset0:30 offset1:32
	global_load_dwordx2 v[48:49], v105, s[8:9] offset:880
	global_load_dwordx2 v[50:51], v107, s[8:9] offset:880
	v_lshrrev_b32_e32 v130, 18, v15
	s_movk_i32 s6, 0x77
	v_cmp_lt_u32_e32 vcc, s6, v63
	v_lshlrev_b32_e32 v1, 3, v1
	s_movk_i32 s6, 0x780
	v_lshrrev_b32_e32 v3, 18, v3
	v_mul_lo_u16_e32 v3, 0xf0, v3
	v_lshrrev_b32_e32 v4, 18, v4
	v_sub_u16_e32 v3, v89, v3
	v_mul_lo_u16_e32 v4, 0xf0, v4
	v_sub_u16_e32 v4, v87, v4
	v_lshrrev_b32_e32 v87, 19, v12
	v_lshrrev_b32_e32 v12, 20, v12
	s_waitcnt vmcnt(13) lgkmcnt(0)
	v_mul_f32_e32 v52, v23, v19
	v_fmac_f32_e32 v52, v22, v18
	v_mul_f32_e32 v18, v23, v18
	v_fma_f32 v53, v22, v19, -v18
	ds_read2st64_b64 v[22:25], v64 offset0:34 offset1:36
	s_waitcnt vmcnt(12)
	v_mul_f32_e32 v18, v27, v20
	v_mul_f32_e32 v108, v27, v21
	v_fma_f32 v109, v26, v21, -v18
	v_fmac_f32_e32 v108, v26, v20
	s_waitcnt vmcnt(11) lgkmcnt(0)
	v_mul_f32_e32 v18, v29, v22
	v_fma_f32 v111, v28, v23, -v18
	ds_read2st64_b64 v[18:21], v64 offset0:38 offset1:40
	v_mul_f32_e32 v110, v29, v23
	v_fmac_f32_e32 v110, v28, v22
	s_waitcnt vmcnt(10)
	v_mul_f32_e32 v112, v25, v31
	v_mul_f32_e32 v22, v24, v31
	v_fmac_f32_e32 v112, v24, v30
	v_fma_f32 v113, v25, v30, -v22
	ds_read2st64_b64 v[22:25], v64 offset0:42 offset1:44
	s_waitcnt vmcnt(9) lgkmcnt(1)
	v_mul_f32_e32 v114, v19, v33
	v_fmac_f32_e32 v114, v18, v32
	v_mul_f32_e32 v18, v18, v33
	v_fma_f32 v115, v19, v32, -v18
	s_waitcnt vmcnt(8)
	v_mul_f32_e32 v18, v20, v35
	v_mul_f32_e32 v116, v21, v35
	v_fma_f32 v117, v21, v34, -v18
	s_waitcnt vmcnt(7) lgkmcnt(0)
	v_mul_f32_e32 v18, v22, v37
	v_fmac_f32_e32 v116, v20, v34
	v_mul_f32_e32 v118, v23, v37
	v_fma_f32 v119, v23, v36, -v18
	ds_read2st64_b64 v[18:21], v64 offset0:46 offset1:48
	v_fmac_f32_e32 v118, v22, v36
	s_waitcnt vmcnt(6)
	v_mul_f32_e32 v120, v25, v39
	v_mul_f32_e32 v22, v24, v39
	v_fmac_f32_e32 v120, v24, v38
	v_fma_f32 v121, v25, v38, -v22
	ds_read2st64_b64 v[22:25], v64 offset0:50 offset1:52
	s_waitcnt vmcnt(5) lgkmcnt(1)
	v_mul_f32_e32 v122, v19, v41
	v_fmac_f32_e32 v122, v18, v40
	v_mul_f32_e32 v18, v18, v41
	v_fma_f32 v123, v19, v40, -v18
	s_waitcnt vmcnt(4)
	v_mul_f32_e32 v18, v20, v43
	s_waitcnt vmcnt(3) lgkmcnt(0)
	v_mul_f32_e32 v126, v23, v45
	v_fma_f32 v125, v21, v42, -v18
	v_fmac_f32_e32 v126, v22, v44
	v_mul_f32_e32 v18, v22, v45
	v_mul_lo_u16_e32 v22, 0x78, v130
	v_sub_u16_e32 v22, v86, v22
	v_fma_f32 v127, v23, v44, -v18
	s_waitcnt vmcnt(2)
	v_mul_f32_e32 v128, v25, v47
	v_mul_f32_e32 v18, v24, v47
	v_lshlrev_b32_e32 v131, 3, v22
	v_fmac_f32_e32 v128, v24, v46
	v_fma_f32 v129, v25, v46, -v18
	global_load_dwordx2 v[46:47], v131, s[8:9] offset:880
	v_mul_f32_e32 v124, v21, v43
	v_fmac_f32_e32 v124, v20, v42
	ds_read2st64_b64 v[18:21], v64 offset0:54 offset1:56
	ds_read2st64_b64 v[22:25], v64 offset1:2
	s_waitcnt vmcnt(2) lgkmcnt(1)
	v_mul_f32_e32 v132, v19, v49
	v_fmac_f32_e32 v132, v18, v48
	v_mul_f32_e32 v18, v18, v49
	v_fma_f32 v133, v19, v48, -v18
	s_waitcnt vmcnt(1)
	v_mul_f32_e32 v18, v20, v51
	v_fma_f32 v135, v21, v50, -v18
	v_mov_b32_e32 v18, 0x780
	s_waitcnt lgkmcnt(0)
	v_sub_f32_e32 v48, v22, v52
	v_sub_f32_e32 v49, v23, v53
	v_cndmask_b32_e32 v18, 0, v18, vcc
	v_mul_f32_e32 v134, v21, v51
	v_add3_u32 v1, 0, v18, v1
	v_fma_f32 v22, v22, 2.0, -v48
	v_fma_f32 v23, v23, 2.0, -v49
	v_fmac_f32_e32 v134, v20, v50
	ds_read_b64 v[50:51], v65
	ds_read_b64 v[52:53], v64 offset:29696
	ds_read2st64_b64 v[18:21], v64 offset0:4 offset1:6
	ds_read2st64_b64 v[26:29], v64 offset0:8 offset1:10
	;; [unrolled: 1-line block ×6, first 2 shown]
	s_waitcnt vmcnt(0) lgkmcnt(0)
	s_barrier
	ds_write2_b64 v1, v[22:23], v[48:49] offset1:120
	v_sub_f32_e32 v22, v24, v108
	v_sub_f32_e32 v23, v25, v109
	v_mul_u32_u24_e32 v1, 0x780, v54
	v_fma_f32 v24, v24, 2.0, -v22
	v_fma_f32 v25, v25, 2.0, -v23
	v_add3_u32 v1, 0, v1, v55
	ds_write2_b64 v1, v[24:25], v[22:23] offset1:120
	v_sub_f32_e32 v22, v18, v110
	v_sub_f32_e32 v23, v19, v111
	v_mul_u32_u24_sdwa v1, v56, s6 dst_sel:DWORD dst_unused:UNUSED_PAD src0_sel:WORD_1 src1_sel:DWORD
	v_add3_u32 v1, 0, v1, v57
	v_fma_f32 v18, v18, 2.0, -v22
	v_fma_f32 v19, v19, 2.0, -v23
	ds_write2_b64 v1, v[18:19], v[22:23] offset1:120
	v_sub_f32_e32 v18, v20, v112
	v_sub_f32_e32 v19, v21, v113
	v_mul_u32_u24_sdwa v1, v16, s6 dst_sel:DWORD dst_unused:UNUSED_PAD src0_sel:WORD_1 src1_sel:DWORD
	v_fma_f32 v20, v20, 2.0, -v18
	v_fma_f32 v21, v21, 2.0, -v19
	v_add3_u32 v1, 0, v1, v58
	ds_write2_b64 v1, v[20:21], v[18:19] offset1:120
	v_sub_f32_e32 v18, v26, v114
	v_sub_f32_e32 v19, v27, v115
	v_mul_u32_u24_e32 v1, 0x780, v59
	v_add3_u32 v1, 0, v1, v60
	v_fma_f32 v20, v26, 2.0, -v18
	v_fma_f32 v21, v27, 2.0, -v19
	ds_write2_b64 v1, v[20:21], v[18:19] offset1:120
	v_sub_f32_e32 v18, v28, v116
	v_sub_f32_e32 v19, v29, v117
	v_mul_u32_u24_e32 v1, 0x780, v90
	v_fma_f32 v20, v28, 2.0, -v18
	v_fma_f32 v21, v29, 2.0, -v19
	v_add3_u32 v1, 0, v1, v91
	ds_write2_b64 v1, v[20:21], v[18:19] offset1:120
	v_sub_f32_e32 v18, v30, v118
	v_sub_f32_e32 v19, v31, v119
	v_mul_u32_u24_e32 v1, 0x780, v92
	v_add3_u32 v1, 0, v1, v93
	v_fma_f32 v20, v30, 2.0, -v18
	v_fma_f32 v21, v31, 2.0, -v19
	ds_write2_b64 v1, v[20:21], v[18:19] offset1:120
	v_sub_f32_e32 v18, v50, v120
	v_sub_f32_e32 v19, v51, v121
	v_mul_u32_u24_e32 v1, 0x780, v94
	v_fma_f32 v20, v50, 2.0, -v18
	v_fma_f32 v21, v51, 2.0, -v19
	v_add3_u32 v1, 0, v1, v95
	ds_write2_b64 v1, v[20:21], v[18:19] offset1:120
	v_sub_f32_e32 v18, v32, v122
	v_sub_f32_e32 v19, v33, v123
	v_mul_u32_u24_e32 v1, 0x780, v96
	v_fma_f32 v20, v32, 2.0, -v18
	v_fma_f32 v21, v33, 2.0, -v19
	v_add3_u32 v1, 0, v1, v97
	ds_write2_b64 v1, v[20:21], v[18:19] offset1:120
	v_sub_f32_e32 v18, v34, v124
	v_sub_f32_e32 v19, v35, v125
	v_mul_u32_u24_e32 v1, 0x780, v98
	v_add3_u32 v1, 0, v1, v99
	v_fma_f32 v20, v34, 2.0, -v18
	v_fma_f32 v21, v35, 2.0, -v19
	ds_write2_b64 v1, v[20:21], v[18:19] offset1:120
	v_sub_f32_e32 v18, v36, v126
	v_sub_f32_e32 v19, v37, v127
	v_mul_u32_u24_e32 v1, 0x780, v100
	v_fma_f32 v20, v36, 2.0, -v18
	v_fma_f32 v21, v37, 2.0, -v19
	v_add3_u32 v1, 0, v1, v101
	ds_write2_b64 v1, v[20:21], v[18:19] offset1:120
	v_sub_f32_e32 v18, v38, v128
	v_sub_f32_e32 v19, v39, v129
	v_mul_u32_u24_e32 v1, 0x780, v102
	v_add3_u32 v1, 0, v1, v103
	v_fma_f32 v20, v38, 2.0, -v18
	v_fma_f32 v21, v39, 2.0, -v19
	;; [unrolled: 14-line block ×3, first 2 shown]
	ds_write2_b64 v1, v[20:21], v[18:19] offset1:120
	v_mul_f32_e32 v1, v53, v47
	v_mul_f32_e32 v18, v52, v47
	v_fmac_f32_e32 v1, v52, v46
	v_fma_f32 v19, v53, v46, -v18
	v_sub_f32_e32 v18, v44, v1
	v_sub_f32_e32 v19, v45, v19
	v_mul_u32_u24_e32 v1, 0x780, v130
	v_fma_f32 v20, v44, 2.0, -v18
	v_fma_f32 v21, v45, 2.0, -v19
	v_add3_u32 v1, 0, v1, v131
	s_movk_i32 s6, 0xf0
	ds_write2_b64 v1, v[20:21], v[18:19] offset1:120
	s_waitcnt lgkmcnt(0)
	s_barrier
	global_load_dwordx2 v[20:21], v76, s[8:9] offset:1840
	global_load_dwordx2 v[26:27], v79, s[8:9] offset:1968
	v_add_u32_e32 v1, 0xffffff90, v63
	v_cmp_gt_u32_e32 vcc, s6, v6
	v_cndmask_b32_e32 v1, v1, v6, vcc
	v_lshlrev_b64 v[18:19], 3, v[1:2]
	v_lshrrev_b32_e32 v53, 17, v16
	v_add_co_u32_e32 v18, vcc, s8, v18
	v_addc_co_u32_e32 v19, vcc, v7, v19, vcc
	global_load_dwordx2 v[24:25], v[18:19], off offset:1840
	v_mul_lo_u16_e32 v16, 0xf0, v53
	v_sub_u16_e32 v16, v5, v16
	v_lshrrev_b32_e32 v52, 18, v17
	v_lshlrev_b32_e32 v54, 3, v16
	v_mul_lo_u16_e32 v17, 0xf0, v52
	global_load_dwordx2 v[28:29], v54, s[8:9] offset:1840
	v_lshrrev_b32_e32 v58, 18, v8
	v_sub_u16_e32 v16, v88, v17
	v_lshlrev_b32_e32 v57, 3, v3
	v_mul_lo_u16_e32 v3, 0xf0, v58
	v_lshlrev_b32_e32 v56, 3, v16
	v_sub_u16_e32 v16, v71, v3
	v_lshlrev_b32_e32 v55, 3, v4
	v_lshlrev_b32_e32 v59, 3, v16
	v_lshrrev_b32_e32 v16, 19, v10
	global_load_dwordx2 v[30:31], v55, s[8:9] offset:1840
	global_load_dwordx2 v[32:33], v56, s[8:9] offset:1840
	v_mul_lo_u16_e32 v16, 0xf0, v16
	v_sub_u16_e32 v16, v80, v16
	global_load_dwordx2 v[3:4], v57, s[8:9] offset:1840
	global_load_dwordx2 v[34:35], v59, s[8:9] offset:1840
	v_lshlrev_b32_e32 v60, 3, v16
	global_load_dwordx2 v[36:37], v60, s[8:9] offset:1840
	v_mul_lo_u16_e32 v16, 0xf0, v87
	v_sub_u16_e32 v16, v81, v16
	v_lshlrev_b32_e32 v88, 3, v16
	global_load_dwordx2 v[38:39], v88, s[8:9] offset:1840
	v_lshrrev_b32_e32 v16, 19, v9
	v_mul_lo_u16_e32 v16, 0xf0, v16
	v_sub_u16_e32 v16, v82, v16
	v_lshrrev_b32_e32 v90, 19, v11
	v_lshlrev_b32_e32 v89, 3, v16
	v_mul_lo_u16_e32 v16, 0xf0, v90
	v_sub_u16_e32 v16, v83, v16
	global_load_dwordx2 v[40:41], v89, s[8:9] offset:1840
	v_lshlrev_b32_e32 v91, 3, v16
	global_load_dwordx2 v[42:43], v91, s[8:9] offset:1840
	v_lshrrev_b32_e32 v16, 19, v13
	v_mul_lo_u16_e32 v16, 0xf0, v16
	v_sub_u16_e32 v16, v84, v16
	v_lshrrev_b32_e32 v93, 19, v14
	v_lshlrev_b32_e32 v92, 3, v16
	global_load_dwordx2 v[44:45], v92, s[8:9] offset:1840
	v_mul_lo_u16_e32 v16, 0xf0, v93
	v_sub_u16_e32 v16, v85, v16
	v_lshlrev_b32_e32 v94, 3, v16
	global_load_dwordx2 v[46:47], v94, s[8:9] offset:1840
	v_lshrrev_b32_e32 v22, 19, v15
	v_mul_lo_u16_e32 v22, 0xf0, v22
	v_sub_u16_e32 v22, v86, v22
	v_lshlrev_b32_e32 v95, 3, v22
	global_load_dwordx2 v[48:49], v95, s[8:9] offset:1840
	ds_read2st64_b64 v[16:19], v64 offset0:30 offset1:32
	s_movk_i32 s6, 0xef
	v_cmp_lt_u32_e32 vcc, s6, v6
	v_lshlrev_b32_e32 v1, 3, v1
	s_movk_i32 s6, 0x1000
	v_lshrrev_b32_e32 v10, 20, v10
	v_mul_lo_u16_e32 v10, 0x1e0, v10
	v_sub_u16_e32 v10, v80, v10
	s_waitcnt vmcnt(14) lgkmcnt(0)
	v_mul_f32_e32 v50, v21, v17
	v_fmac_f32_e32 v50, v20, v16
	v_mul_f32_e32 v16, v21, v16
	v_fma_f32 v51, v20, v17, -v16
	ds_read2st64_b64 v[20:23], v64 offset0:34 offset1:36
	s_waitcnt vmcnt(13) lgkmcnt(0)
	v_mul_f32_e32 v97, v27, v21
	v_fmac_f32_e32 v97, v26, v20
	s_waitcnt vmcnt(12)
	v_mul_f32_e32 v96, v25, v19
	v_mul_f32_e32 v16, v25, v18
	v_fmac_f32_e32 v96, v24, v18
	v_fma_f32 v24, v24, v19, -v16
	v_mul_f32_e32 v16, v27, v20
	v_fma_f32 v98, v26, v21, -v16
	ds_read2st64_b64 v[16:19], v64 offset0:38 offset1:40
	s_waitcnt vmcnt(11)
	v_mul_f32_e32 v99, v23, v29
	v_mul_f32_e32 v20, v22, v29
	v_fmac_f32_e32 v99, v22, v28
	v_fma_f32 v100, v23, v28, -v20
	ds_read2st64_b64 v[20:23], v64 offset0:42 offset1:44
	s_waitcnt vmcnt(10) lgkmcnt(1)
	v_mul_f32_e32 v101, v17, v31
	v_fmac_f32_e32 v101, v16, v30
	v_mul_f32_e32 v16, v16, v31
	v_fma_f32 v102, v17, v30, -v16
	s_waitcnt vmcnt(9)
	v_mul_f32_e32 v103, v19, v33
	v_mul_f32_e32 v16, v18, v33
	v_fmac_f32_e32 v103, v18, v32
	v_fma_f32 v104, v19, v32, -v16
	s_waitcnt vmcnt(8) lgkmcnt(0)
	v_mul_f32_e32 v105, v21, v4
	v_mul_f32_e32 v4, v20, v4
	ds_read2st64_b64 v[16:19], v64 offset0:46 offset1:48
	v_fmac_f32_e32 v105, v20, v3
	v_fma_f32 v106, v21, v3, -v4
	s_waitcnt vmcnt(7)
	v_mul_f32_e32 v107, v23, v35
	v_mul_f32_e32 v3, v22, v35
	v_fmac_f32_e32 v107, v22, v34
	v_fma_f32 v108, v23, v34, -v3
	ds_read2st64_b64 v[20:23], v64 offset0:50 offset1:52
	s_waitcnt vmcnt(6) lgkmcnt(1)
	v_mul_f32_e32 v3, v16, v37
	v_mul_f32_e32 v109, v17, v37
	v_fma_f32 v110, v17, v36, -v3
	s_waitcnt vmcnt(5)
	v_mul_f32_e32 v111, v19, v39
	v_mul_f32_e32 v3, v18, v39
	v_fmac_f32_e32 v109, v16, v36
	v_fmac_f32_e32 v111, v18, v38
	v_fma_f32 v112, v19, v38, -v3
	s_waitcnt vmcnt(4) lgkmcnt(0)
	v_mul_f32_e32 v3, v20, v41
	ds_read2st64_b64 v[16:19], v64 offset0:54 offset1:56
	v_mul_f32_e32 v113, v21, v41
	v_fma_f32 v114, v21, v40, -v3
	s_waitcnt vmcnt(3)
	v_mul_f32_e32 v115, v23, v43
	v_mul_f32_e32 v3, v22, v43
	v_fmac_f32_e32 v113, v20, v40
	v_fmac_f32_e32 v115, v22, v42
	v_fma_f32 v116, v23, v42, -v3
	ds_read2st64_b64 v[20:23], v64 offset1:2
	s_waitcnt vmcnt(2) lgkmcnt(1)
	v_mul_f32_e32 v3, v16, v45
	v_fma_f32 v118, v17, v44, -v3
	s_waitcnt vmcnt(1)
	v_mul_f32_e32 v3, v18, v47
	v_fma_f32 v120, v19, v46, -v3
	s_waitcnt lgkmcnt(0)
	v_sub_f32_e32 v3, v20, v50
	v_sub_f32_e32 v4, v21, v51
	v_mul_f32_e32 v117, v17, v45
	v_mul_f32_e32 v119, v19, v47
	v_sub_f32_e32 v40, v22, v96
	v_sub_f32_e32 v41, v23, v24
	v_fma_f32 v42, v20, 2.0, -v3
	v_fma_f32 v43, v21, 2.0, -v4
	v_fmac_f32_e32 v117, v16, v44
	v_fmac_f32_e32 v119, v18, v46
	v_fma_f32 v44, v22, 2.0, -v40
	v_fma_f32 v45, v23, 2.0, -v41
	ds_read_b64 v[46:47], v65
	ds_read_b64 v[50:51], v64 offset:29696
	ds_read2st64_b64 v[16:19], v64 offset0:4 offset1:6
	ds_read2st64_b64 v[20:23], v64 offset0:8 offset1:10
	;; [unrolled: 1-line block ×6, first 2 shown]
	s_waitcnt vmcnt(0) lgkmcnt(0)
	s_barrier
	ds_write2_b64 v64, v[42:43], v[3:4] offset1:240
	v_mov_b32_e32 v3, 0xf00
	v_cndmask_b32_e32 v3, 0, v3, vcc
	v_add3_u32 v1, 0, v3, v1
	v_sub_f32_e32 v3, v16, v97
	v_sub_f32_e32 v4, v17, v98
	ds_write2_b64 v1, v[44:45], v[40:41] offset1:240
	v_fma_f32 v16, v16, 2.0, -v3
	v_fma_f32 v17, v17, 2.0, -v4
	v_add_u32_e32 v1, 0xf80, v64
	ds_write2_b64 v1, v[16:17], v[3:4] offset1:240
	v_sub_f32_e32 v3, v18, v99
	v_sub_f32_e32 v4, v19, v100
	v_mul_u32_u24_e32 v1, 0xf00, v53
	v_fma_f32 v16, v18, 2.0, -v3
	v_fma_f32 v17, v19, 2.0, -v4
	v_add3_u32 v1, 0, v1, v54
	ds_write2_b64 v1, v[16:17], v[3:4] offset1:240
	v_sub_f32_e32 v3, v20, v101
	v_sub_f32_e32 v4, v21, v102
	v_add_u32_e32 v1, 0, v55
	v_fma_f32 v16, v20, 2.0, -v3
	v_fma_f32 v17, v21, 2.0, -v4
	v_add_u32_e32 v1, 0x1e00, v1
	ds_write2_b64 v1, v[16:17], v[3:4] offset1:240
	v_sub_f32_e32 v3, v22, v103
	v_sub_f32_e32 v4, v23, v104
	v_mul_u32_u24_e32 v1, 0xf00, v52
	v_fma_f32 v16, v22, 2.0, -v3
	v_fma_f32 v17, v23, 2.0, -v4
	v_add3_u32 v1, 0, v1, v56
	ds_write2_b64 v1, v[16:17], v[3:4] offset1:240
	v_sub_f32_e32 v3, v24, v105
	v_sub_f32_e32 v4, v25, v106
	v_add_u32_e32 v1, 0, v57
	;; [unrolled: 14-line block ×3, first 2 shown]
	v_fma_f32 v16, v26, 2.0, -v3
	v_fma_f32 v17, v27, 2.0, -v4
	v_add_u32_e32 v1, 0x3c00, v1
	ds_write2_b64 v1, v[16:17], v[3:4] offset1:240
	v_sub_f32_e32 v3, v28, v111
	v_sub_f32_e32 v4, v29, v112
	v_mul_u32_u24_e32 v1, 0xf00, v87
	v_add3_u32 v1, 0, v1, v88
	v_fma_f32 v16, v28, 2.0, -v3
	v_fma_f32 v17, v29, 2.0, -v4
	ds_write2_b64 v1, v[16:17], v[3:4] offset1:240
	v_sub_f32_e32 v3, v30, v113
	v_sub_f32_e32 v4, v31, v114
	v_add_u32_e32 v1, 0, v89
	v_fma_f32 v16, v30, 2.0, -v3
	v_fma_f32 v17, v31, 2.0, -v4
	v_add_u32_e32 v1, 0x4b00, v1
	ds_write2_b64 v1, v[16:17], v[3:4] offset1:240
	v_sub_f32_e32 v3, v32, v115
	v_sub_f32_e32 v4, v33, v116
	v_mul_u32_u24_e32 v1, 0xf00, v90
	v_add3_u32 v1, 0, v1, v91
	v_fma_f32 v16, v32, 2.0, -v3
	v_fma_f32 v17, v33, 2.0, -v4
	ds_write2_b64 v1, v[16:17], v[3:4] offset1:240
	v_sub_f32_e32 v3, v34, v117
	v_sub_f32_e32 v4, v35, v118
	v_add_u32_e32 v1, 0, v92
	v_fma_f32 v16, v34, 2.0, -v3
	v_fma_f32 v17, v35, 2.0, -v4
	v_add_u32_e32 v1, 0x5a00, v1
	ds_write2_b64 v1, v[16:17], v[3:4] offset1:240
	v_sub_f32_e32 v3, v36, v119
	v_sub_f32_e32 v4, v37, v120
	v_mul_u32_u24_e32 v1, 0xf00, v93
	v_add3_u32 v1, 0, v1, v94
	v_fma_f32 v16, v36, 2.0, -v3
	v_fma_f32 v17, v37, 2.0, -v4
	ds_write2_b64 v1, v[16:17], v[3:4] offset1:240
	v_mul_f32_e32 v1, v51, v49
	v_mul_f32_e32 v3, v50, v49
	v_fmac_f32_e32 v1, v50, v48
	v_fma_f32 v4, v51, v48, -v3
	v_sub_f32_e32 v3, v38, v1
	v_sub_f32_e32 v4, v39, v4
	v_add_u32_e32 v1, 0, v95
	v_fma_f32 v16, v38, 2.0, -v3
	v_fma_f32 v17, v39, 2.0, -v4
	v_add_u32_e32 v1, 0x6900, v1
	v_add_co_u32_e32 v6, vcc, s8, v79
	ds_write2_b64 v1, v[16:17], v[3:4] offset1:240
	s_waitcnt lgkmcnt(0)
	s_barrier
	global_load_dwordx2 v[17:18], v76, s[8:9] offset:3760
	v_addc_co_u32_e32 v16, vcc, 0, v7, vcc
	v_add_co_u32_e32 v3, vcc, s6, v6
	v_addc_co_u32_e32 v4, vcc, 0, v16, vcc
	global_load_dwordx2 v[19:20], v[3:4], off offset:688
	global_load_dwordx2 v[21:22], v[3:4], off offset:1712
	v_add_u32_e32 v1, 0xffffffa0, v63
	v_cmp_gt_u32_e32 vcc, s5, v5
	v_cndmask_b32_e32 v1, v1, v5, vcc
	v_lshlrev_b64 v[23:24], 3, v[1:2]
	v_lshrrev_b32_e32 v51, 19, v8
	v_add_co_u32_e32 v23, vcc, s8, v23
	v_addc_co_u32_e32 v24, vcc, v7, v24, vcc
	global_load_dwordx2 v[25:26], v[23:24], off offset:3760
	global_load_dwordx2 v[27:28], v79, s[8:9] offset:4016
	global_load_dwordx2 v[29:30], v[3:4], off offset:1968
	global_load_dwordx2 v[31:32], v[3:4], off offset:944
	v_mul_lo_u16_e32 v8, 0x1e0, v51
	v_sub_u16_e32 v8, v71, v8
	v_lshlrev_b32_e32 v52, 3, v8
	global_load_dwordx2 v[23:24], v52, s[8:9] offset:3760
	v_mul_lo_u16_e32 v8, 0x1e0, v12
	v_sub_u16_e32 v8, v81, v8
	v_lshlrev_b32_e32 v53, 3, v10
	global_load_dwordx2 v[33:34], v53, s[8:9] offset:3760
	v_lshlrev_b32_e32 v54, 3, v8
	global_load_dwordx2 v[35:36], v54, s[8:9] offset:3760
	v_lshrrev_b32_e32 v8, 20, v9
	v_mul_lo_u16_e32 v8, 0x1e0, v8
	v_sub_u16_e32 v8, v82, v8
	v_lshrrev_b32_e32 v55, 20, v11
	v_mul_lo_u16_e32 v9, 0x1e0, v55
	v_lshlrev_b32_e32 v56, 3, v8
	global_load_dwordx2 v[37:38], v56, s[8:9] offset:3760
	v_sub_u16_e32 v8, v83, v9
	v_lshlrev_b32_e32 v57, 3, v8
	v_lshrrev_b32_e32 v9, 20, v13
	global_load_dwordx2 v[39:40], v57, s[8:9] offset:3760
	v_mul_lo_u16_e32 v9, 0x1e0, v9
	v_sub_u16_e32 v8, v84, v9
	v_lshrrev_b32_e32 v9, 20, v14
	v_lshlrev_b32_e32 v58, 3, v8
	global_load_dwordx2 v[41:42], v58, s[8:9] offset:3760
	v_mul_lo_u16_e32 v8, 0x1e0, v9
	v_sub_u16_e32 v8, v85, v8
	v_lshlrev_b32_e32 v59, 3, v8
	global_load_dwordx2 v[43:44], v59, s[8:9] offset:3760
	v_lshrrev_b32_e32 v12, 20, v15
	v_mul_lo_u16_e32 v12, 0x1e0, v12
	v_sub_u16_e32 v12, v86, v12
	v_lshlrev_b32_e32 v60, 3, v12
	global_load_dwordx2 v[45:46], v60, s[8:9] offset:3760
	ds_read2st64_b64 v[8:11], v64 offset0:30 offset1:32
	ds_read2st64_b64 v[12:15], v64 offset0:34 offset1:36
	s_movk_i32 s5, 0x1df
	v_cmp_lt_u32_e32 vcc, s5, v5
	v_lshlrev_b32_e32 v1, 3, v1
	s_movk_i32 s5, 0x2000
	s_waitcnt vmcnt(14) lgkmcnt(1)
	v_mul_f32_e32 v47, v18, v9
	v_fmac_f32_e32 v47, v17, v8
	v_mul_f32_e32 v8, v18, v8
	v_fma_f32 v48, v17, v9, -v8
	s_waitcnt vmcnt(13)
	v_mul_f32_e32 v8, v20, v10
	v_mul_f32_e32 v49, v20, v11
	v_fma_f32 v50, v19, v11, -v8
	s_waitcnt vmcnt(12) lgkmcnt(0)
	v_mul_f32_e32 v79, v22, v13
	v_mul_f32_e32 v8, v22, v12
	v_fmac_f32_e32 v49, v19, v10
	v_fmac_f32_e32 v79, v21, v12
	v_fma_f32 v21, v21, v13, -v8
	ds_read2st64_b64 v[8:11], v64 offset0:38 offset1:40
	s_waitcnt vmcnt(11)
	v_mul_f32_e32 v80, v15, v26
	v_mul_f32_e32 v12, v14, v26
	v_fmac_f32_e32 v80, v14, v25
	v_fma_f32 v81, v15, v25, -v12
	ds_read2st64_b64 v[12:15], v64 offset0:42 offset1:44
	s_waitcnt vmcnt(10) lgkmcnt(1)
	v_mul_f32_e32 v82, v9, v28
	v_fmac_f32_e32 v82, v8, v27
	v_mul_f32_e32 v8, v8, v28
	v_fma_f32 v83, v9, v27, -v8
	s_waitcnt vmcnt(8)
	v_mul_f32_e32 v8, v10, v32
	v_mul_f32_e32 v84, v11, v32
	v_fma_f32 v85, v11, v31, -v8
	s_waitcnt lgkmcnt(0)
	v_mul_f32_e32 v8, v12, v30
	v_fmac_f32_e32 v84, v10, v31
	v_fma_f32 v87, v13, v29, -v8
	ds_read2st64_b64 v[8:11], v64 offset0:46 offset1:48
	v_mul_f32_e32 v86, v13, v30
	v_fmac_f32_e32 v86, v12, v29
	s_waitcnt vmcnt(7)
	v_mul_f32_e32 v88, v15, v24
	v_mul_f32_e32 v12, v14, v24
	v_fmac_f32_e32 v88, v14, v23
	v_fma_f32 v89, v15, v23, -v12
	ds_read2st64_b64 v[12:15], v64 offset0:50 offset1:52
	s_waitcnt vmcnt(6) lgkmcnt(1)
	v_mul_f32_e32 v90, v9, v34
	v_fmac_f32_e32 v90, v8, v33
	v_mul_f32_e32 v8, v8, v34
	v_fma_f32 v91, v9, v33, -v8
	s_waitcnt vmcnt(5)
	v_mul_f32_e32 v8, v10, v36
	v_mul_f32_e32 v92, v11, v36
	v_fma_f32 v93, v11, v35, -v8
	s_waitcnt vmcnt(4) lgkmcnt(0)
	v_mul_f32_e32 v8, v12, v38
	v_fmac_f32_e32 v92, v10, v35
	v_mul_f32_e32 v94, v13, v38
	v_fma_f32 v95, v13, v37, -v8
	ds_read2st64_b64 v[8:11], v64 offset0:54 offset1:56
	v_fmac_f32_e32 v94, v12, v37
	s_waitcnt vmcnt(3)
	v_mul_f32_e32 v96, v15, v40
	v_mul_f32_e32 v12, v14, v40
	ds_read2st64_b64 v[17:20], v64 offset0:4 offset1:6
	v_fmac_f32_e32 v96, v14, v39
	v_fma_f32 v97, v15, v39, -v12
	ds_read2st64_b64 v[12:15], v64 offset1:2
	s_waitcnt vmcnt(2) lgkmcnt(2)
	v_mul_f32_e32 v98, v9, v42
	v_fmac_f32_e32 v98, v8, v41
	v_mul_f32_e32 v8, v8, v42
	s_waitcnt lgkmcnt(1)
	v_sub_f32_e32 v39, v17, v79
	v_sub_f32_e32 v40, v18, v21
	v_fma_f32 v99, v9, v41, -v8
	s_waitcnt vmcnt(1)
	v_mul_f32_e32 v100, v11, v44
	v_mul_f32_e32 v8, v10, v44
	s_waitcnt lgkmcnt(0)
	v_sub_f32_e32 v37, v12, v47
	v_sub_f32_e32 v38, v13, v48
	v_fma_f32 v17, v17, 2.0, -v39
	v_fma_f32 v18, v18, 2.0, -v40
	v_add_u32_e32 v47, 0x800, v64
	v_fmac_f32_e32 v100, v10, v43
	v_fma_f32 v101, v11, v43, -v8
	ds_read_b64 v[41:42], v65
	ds_read_b64 v[43:44], v64 offset:29696
	ds_read2st64_b64 v[8:11], v64 offset0:8 offset1:10
	ds_read2st64_b64 v[21:24], v64 offset0:12 offset1:16
	;; [unrolled: 1-line block ×5, first 2 shown]
	s_waitcnt vmcnt(0) lgkmcnt(0)
	s_barrier
	ds_write2_b64 v47, v[17:18], v[37:38] offset1:224
	v_sub_f32_e32 v17, v14, v49
	v_sub_f32_e32 v18, v15, v50
	v_fma_f32 v12, v12, 2.0, -v37
	v_fma_f32 v13, v13, 2.0, -v38
	v_fma_f32 v14, v14, 2.0, -v17
	v_fma_f32 v15, v15, 2.0, -v18
	ds_write2st64_b64 v64, v[12:13], v[14:15] offset1:2
	v_mov_b32_e32 v13, 0x1e00
	v_sub_f32_e32 v37, v19, v80
	v_sub_f32_e32 v38, v20, v81
	;; [unrolled: 1-line block ×4, first 2 shown]
	v_cndmask_b32_e32 v5, 0, v13, vcc
	v_fma_f32 v19, v19, 2.0, -v37
	v_fma_f32 v20, v20, 2.0, -v38
	v_sub_f32_e32 v49, v10, v84
	v_sub_f32_e32 v50, v11, v85
	v_fma_f32 v8, v8, 2.0, -v47
	v_fma_f32 v9, v9, 2.0, -v48
	v_add_u32_e32 v12, 0x100, v64
	v_add3_u32 v1, 0, v5, v1
	v_fma_f32 v10, v10, 2.0, -v49
	v_fma_f32 v11, v11, 2.0, -v50
	ds_write2st64_b64 v12, v[17:18], v[39:40] offset0:9 offset1:11
	ds_write_b64 v1, v[19:20]
	ds_write_b64 v1, v[37:38] offset:3840
	ds_write2st64_b64 v12, v[8:9], v[10:11] offset0:15 offset1:17
	v_sub_f32_e32 v8, v21, v86
	v_sub_f32_e32 v9, v22, v87
	v_fma_f32 v10, v21, 2.0, -v8
	v_fma_f32 v11, v22, 2.0, -v9
	v_add_u32_e32 v1, 0x2700, v64
	ds_write2_b64 v1, v[10:11], v[47:48] offset1:224
	v_mul_f32_e32 v1, v44, v46
	v_fmac_f32_e32 v1, v43, v45
	v_sub_f32_e32 v37, v35, v1
	ds_write2st64_b64 v64, v[49:50], v[8:9] offset0:25 offset1:27
	v_sub_f32_e32 v8, v41, v88
	v_sub_f32_e32 v9, v42, v89
	v_mul_u32_u24_e32 v1, 0x1e00, v51
	v_sub_f32_e32 v10, v23, v90
	v_sub_f32_e32 v11, v24, v91
	v_fma_f32 v39, v41, 2.0, -v8
	v_fma_f32 v40, v42, 2.0, -v9
	v_add3_u32 v1, 0, v1, v52
	v_fma_f32 v12, v23, 2.0, -v10
	v_fma_f32 v13, v24, 2.0, -v11
	v_sub_f32_e32 v14, v25, v92
	v_sub_f32_e32 v15, v26, v93
	ds_write_b64 v1, v[39:40]
	ds_write_b64 v1, v[8:9] offset:3840
	v_add_u32_e32 v1, 0, v53
	v_mul_f32_e32 v5, v43, v46
	v_sub_f32_e32 v17, v27, v94
	v_sub_f32_e32 v18, v28, v95
	v_fma_f32 v19, v25, 2.0, -v14
	v_fma_f32 v20, v26, 2.0, -v15
	ds_write_b64 v1, v[12:13] offset:15360
	ds_write_b64 v1, v[10:11] offset:19200
	v_add_u32_e32 v1, 0, v54
	v_fma_f32 v5, v44, v45, -v5
	v_fma_f32 v21, v27, 2.0, -v17
	v_fma_f32 v22, v28, 2.0, -v18
	ds_write_b64 v1, v[19:20] offset:15360
	ds_write_b64 v1, v[14:15] offset:19200
	v_add_u32_e32 v1, 0, v56
	v_sub_f32_e32 v23, v29, v96
	v_sub_f32_e32 v24, v30, v97
	;; [unrolled: 1-line block ×3, first 2 shown]
	ds_write_b64 v1, v[21:22] offset:15360
	ds_write_b64 v1, v[17:18] offset:19200
	v_mul_u32_u24_e32 v1, 0x1e00, v55
	v_add_co_u32_e32 v5, vcc, s8, v76
	v_sub_f32_e32 v25, v31, v98
	v_sub_f32_e32 v26, v32, v99
	v_fma_f32 v27, v29, 2.0, -v23
	v_fma_f32 v28, v30, 2.0, -v24
	v_add3_u32 v1, 0, v1, v57
	v_addc_co_u32_e32 v8, vcc, 0, v7, vcc
	v_fma_f32 v29, v31, 2.0, -v25
	v_fma_f32 v30, v32, 2.0, -v26
	v_sub_f32_e32 v31, v33, v100
	v_sub_f32_e32 v32, v34, v101
	ds_write_b64 v1, v[27:28]
	ds_write_b64 v1, v[23:24] offset:3840
	v_add_u32_e32 v1, 0, v58
	v_add_co_u32_e32 v9, vcc, s6, v5
	v_fma_f32 v33, v33, 2.0, -v31
	v_fma_f32 v34, v34, 2.0, -v32
	ds_write_b64 v1, v[29:30] offset:23040
	ds_write_b64 v1, v[25:26] offset:26880
	v_add_u32_e32 v1, 0, v59
	v_addc_co_u32_e32 v10, vcc, 0, v8, vcc
	v_fma_f32 v35, v35, 2.0, -v37
	v_fma_f32 v36, v36, 2.0, -v38
	ds_write_b64 v1, v[33:34] offset:23040
	ds_write_b64 v1, v[31:32] offset:26880
	v_add_u32_e32 v1, 0, v60
	v_add_co_u32_e32 v11, vcc, s5, v6
	ds_write_b64 v1, v[35:36] offset:23040
	ds_write_b64 v1, v[37:38] offset:26880
	s_waitcnt lgkmcnt(0)
	s_barrier
	v_addc_co_u32_e32 v12, vcc, 0, v16, vcc
	global_load_dwordx2 v[13:14], v[9:10], off offset:3504
	global_load_dwordx2 v[21:22], v[11:12], off offset:432
	;; [unrolled: 1-line block ×4, first 2 shown]
	v_add_co_u32_e32 v57, vcc, s8, v75
	v_addc_co_u32_e32 v58, vcc, 0, v7, vcc
	v_add_co_u32_e32 v9, vcc, s6, v57
	v_addc_co_u32_e32 v10, vcc, 0, v58, vcc
	;; [unrolled: 2-line block ×6, first 2 shown]
	global_load_dwordx2 v[27:28], v[9:10], off offset:3504
	global_load_dwordx2 v[29:30], v[17:18], off offset:3504
	;; [unrolled: 1-line block ×3, first 2 shown]
	v_cmp_gt_u32_e32 vcc, s4, v71
	v_cndmask_b32_e32 v1, v0, v71, vcc
	v_lshlrev_b64 v[9:10], 3, v[1:2]
	s_movk_i32 s4, 0x3000
	v_add_co_u32_e32 v0, vcc, s8, v9
	v_addc_co_u32_e32 v10, vcc, v7, v10, vcc
	v_add_co_u32_e32 v9, vcc, s6, v0
	v_addc_co_u32_e32 v10, vcc, 0, v10, vcc
	global_load_dwordx2 v[33:34], v[9:10], off offset:3504
	global_load_dwordx2 v[35:36], v[11:12], off offset:944
	;; [unrolled: 1-line block ×6, first 2 shown]
	v_add_co_u32_e32 v3, vcc, s4, v6
	v_addc_co_u32_e32 v4, vcc, 0, v16, vcc
	global_load_dwordx2 v[45:46], v[3:4], off offset:944
	ds_read2st64_b64 v[9:12], v64 offset0:30 offset1:32
	ds_read2st64_b64 v[17:20], v64 offset0:34 offset1:36
	s_movk_i32 s5, 0x3bf
	v_cmp_lt_u32_e32 vcc, s5, v71
	v_lshlrev_b32_e32 v1, 3, v1
	s_movk_i32 s5, 0x4000
	s_waitcnt vmcnt(13) lgkmcnt(1)
	v_mul_f32_e32 v0, v14, v10
	v_fmac_f32_e32 v0, v13, v9
	v_mul_f32_e32 v9, v14, v9
	v_fma_f32 v15, v13, v10, -v9
	s_waitcnt vmcnt(12)
	v_mul_f32_e32 v47, v22, v12
	v_mul_f32_e32 v9, v22, v11
	v_fmac_f32_e32 v47, v21, v11
	v_fma_f32 v21, v21, v12, -v9
	s_waitcnt vmcnt(11) lgkmcnt(0)
	v_mul_f32_e32 v22, v24, v18
	v_mul_f32_e32 v9, v24, v17
	s_waitcnt vmcnt(10)
	v_mul_f32_e32 v24, v20, v26
	v_mul_f32_e32 v13, v19, v26
	v_fmac_f32_e32 v24, v19, v25
	v_fma_f32 v25, v20, v25, -v13
	global_load_dwordx2 v[13:14], v[3:4], off offset:1968
	v_fmac_f32_e32 v22, v23, v17
	v_fma_f32 v23, v23, v18, -v9
	ds_read2st64_b64 v[9:12], v64 offset0:38 offset1:40
	ds_read2st64_b64 v[17:20], v64 offset0:42 offset1:44
	s_waitcnt vmcnt(10) lgkmcnt(1)
	v_mul_f32_e32 v26, v10, v28
	v_fmac_f32_e32 v26, v9, v27
	v_mul_f32_e32 v9, v9, v28
	v_fma_f32 v27, v10, v27, -v9
	s_waitcnt vmcnt(9)
	v_mul_f32_e32 v9, v11, v30
	v_mul_f32_e32 v28, v12, v30
	v_fma_f32 v48, v12, v29, -v9
	s_waitcnt vmcnt(8) lgkmcnt(0)
	v_mul_f32_e32 v9, v17, v32
	v_fmac_f32_e32 v28, v11, v29
	v_fma_f32 v78, v18, v31, -v9
	ds_read2st64_b64 v[9:12], v64 offset0:46 offset1:48
	v_mul_f32_e32 v77, v18, v32
	v_fmac_f32_e32 v77, v17, v31
	s_waitcnt vmcnt(7)
	v_mul_f32_e32 v79, v20, v34
	v_mul_f32_e32 v17, v19, v34
	v_fmac_f32_e32 v79, v19, v33
	v_fma_f32 v80, v20, v33, -v17
	ds_read2st64_b64 v[17:20], v64 offset0:50 offset1:52
	s_waitcnt vmcnt(5) lgkmcnt(1)
	v_mul_f32_e32 v81, v10, v38
	v_fmac_f32_e32 v81, v9, v37
	v_mul_f32_e32 v9, v9, v38
	v_fma_f32 v82, v10, v37, -v9
	v_mul_f32_e32 v9, v11, v36
	v_mul_f32_e32 v83, v12, v36
	v_fma_f32 v84, v12, v35, -v9
	s_waitcnt vmcnt(3) lgkmcnt(0)
	v_mul_f32_e32 v9, v17, v42
	v_fmac_f32_e32 v83, v11, v35
	v_mul_f32_e32 v85, v18, v42
	v_fma_f32 v86, v18, v41, -v9
	ds_read2st64_b64 v[9:12], v64 offset0:54 offset1:56
	v_fmac_f32_e32 v85, v17, v41
	v_mul_f32_e32 v87, v20, v40
	v_mul_f32_e32 v17, v19, v40
	v_fmac_f32_e32 v87, v19, v39
	v_fma_f32 v88, v20, v39, -v17
	ds_read2st64_b64 v[17:20], v64 offset1:2
	s_waitcnt vmcnt(2) lgkmcnt(1)
	v_mul_f32_e32 v89, v10, v44
	v_fmac_f32_e32 v89, v9, v43
	v_mul_f32_e32 v9, v9, v44
	v_fma_f32 v90, v10, v43, -v9
	s_waitcnt vmcnt(1)
	v_mul_f32_e32 v91, v12, v46
	v_mul_f32_e32 v9, v11, v46
	s_waitcnt lgkmcnt(0)
	v_sub_f32_e32 v29, v17, v0
	v_sub_f32_e32 v30, v18, v15
	;; [unrolled: 1-line block ×4, first 2 shown]
	v_fmac_f32_e32 v91, v11, v45
	v_fma_f32 v92, v12, v45, -v9
	ds_read2st64_b64 v[9:12], v64 offset0:4 offset1:6
	v_fma_f32 v33, v17, 2.0, -v29
	v_fma_f32 v34, v18, 2.0, -v30
	;; [unrolled: 1-line block ×4, first 2 shown]
	ds_read2st64_b64 v[17:20], v64 offset0:8 offset1:10
	s_waitcnt lgkmcnt(1)
	v_sub_f32_e32 v37, v9, v22
	v_sub_f32_e32 v38, v10, v23
	;; [unrolled: 1-line block ×4, first 2 shown]
	s_waitcnt lgkmcnt(0)
	v_sub_f32_e32 v45, v17, v26
	v_sub_f32_e32 v46, v18, v27
	;; [unrolled: 1-line block ×4, first 2 shown]
	v_fma_f32 v41, v9, 2.0, -v37
	v_fma_f32 v42, v10, 2.0, -v38
	;; [unrolled: 1-line block ×8, first 2 shown]
	ds_read_b64 v[53:54], v65
	ds_read_b64 v[55:56], v64 offset:29696
	ds_read2st64_b64 v[9:12], v64 offset0:12 offset1:16
	ds_read2st64_b64 v[17:20], v64 offset0:18 offset1:20
	;; [unrolled: 1-line block ×4, first 2 shown]
	s_waitcnt vmcnt(0) lgkmcnt(0)
	s_barrier
	ds_write2st64_b64 v64, v[33:34], v[35:36] offset1:2
	ds_write2st64_b64 v64, v[31:32], v[37:38] offset0:17 offset1:19
	ds_write2st64_b64 v64, v[41:42], v[43:44] offset0:4 offset1:6
	;; [unrolled: 1-line block ×4, first 2 shown]
	v_sub_f32_e32 v31, v9, v77
	v_sub_f32_e32 v32, v10, v78
	v_fma_f32 v9, v9, 2.0, -v31
	v_fma_f32 v10, v10, 2.0, -v32
	v_mov_b32_e32 v0, 0x3c00
	ds_write2st64_b64 v64, v[9:10], v[29:30] offset0:12 offset1:15
	ds_write2st64_b64 v64, v[47:48], v[31:32] offset0:25 offset1:27
	v_sub_f32_e32 v9, v53, v79
	v_sub_f32_e32 v10, v54, v80
	v_cndmask_b32_e32 v0, 0, v0, vcc
	v_fma_f32 v29, v53, 2.0, -v9
	v_fma_f32 v30, v54, 2.0, -v10
	v_add3_u32 v0, 0, v0, v1
	ds_write2st64_b64 v0, v[29:30], v[9:10] offset1:15
	v_mul_f32_e32 v0, v55, v14
	v_mul_f32_e32 v15, v56, v14
	v_fma_f32 v36, v56, v13, -v0
	v_sub_f32_e32 v0, v11, v81
	v_sub_f32_e32 v1, v12, v82
	v_fmac_f32_e32 v15, v55, v13
	v_fma_f32 v9, v11, 2.0, -v0
	v_fma_f32 v10, v12, 2.0, -v1
	v_sub_f32_e32 v11, v17, v83
	v_sub_f32_e32 v12, v18, v84
	v_sub_f32_e32 v13, v19, v85
	v_sub_f32_e32 v14, v20, v86
	v_fma_f32 v17, v17, 2.0, -v11
	v_fma_f32 v18, v18, 2.0, -v12
	v_sub_f32_e32 v29, v21, v87
	v_sub_f32_e32 v30, v22, v88
	;; [unrolled: 1-line block ×8, first 2 shown]
	v_fma_f32 v19, v19, 2.0, -v13
	v_fma_f32 v20, v20, 2.0, -v14
	;; [unrolled: 1-line block ×10, first 2 shown]
	ds_write2st64_b64 v64, v[9:10], v[17:18] offset0:31 offset1:33
	ds_write2st64_b64 v64, v[11:12], v[13:14] offset0:48 offset1:50
	;; [unrolled: 1-line block ×7, first 2 shown]
	v_add_co_u32_e32 v0, vcc, s4, v5
	v_addc_co_u32_e32 v1, vcc, 0, v8, vcc
	v_add_co_u32_e32 v5, vcc, s5, v6
	v_addc_co_u32_e32 v6, vcc, 0, v16, vcc
	s_waitcnt lgkmcnt(0)
	s_barrier
	global_load_dwordx2 v[12:13], v[5:6], off offset:944
	global_load_dwordx2 v[14:15], v[5:6], off offset:1968
	;; [unrolled: 1-line block ×4, first 2 shown]
	v_add_co_u32_e32 v0, vcc, s4, v57
	v_addc_co_u32_e32 v1, vcc, 0, v58, vcc
	v_add_co_u32_e32 v3, vcc, s4, v59
	v_addc_co_u32_e32 v4, vcc, 0, v60, vcc
	;; [unrolled: 2-line block ×5, first 2 shown]
	global_load_dwordx2 v[18:19], v[0:1], off offset:2992
	global_load_dwordx2 v[20:21], v[3:4], off offset:2992
	;; [unrolled: 1-line block ×4, first 2 shown]
	v_add_co_u32_e32 v0, vcc, s8, v67
	v_addc_co_u32_e32 v1, vcc, 0, v7, vcc
	v_add_co_u32_e32 v0, vcc, s4, v0
	v_addc_co_u32_e32 v1, vcc, 0, v1, vcc
	;; [unrolled: 2-line block ×8, first 2 shown]
	global_load_dwordx2 v[0:1], v[0:1], off offset:2992
	s_nop 0
	global_load_dwordx2 v[26:27], v[3:4], off offset:2992
	global_load_dwordx2 v[28:29], v[5:6], off offset:2992
	;; [unrolled: 1-line block ×3, first 2 shown]
	v_add_co_u32_e32 v3, vcc, s8, v70
	v_addc_co_u32_e32 v4, vcc, 0, v7, vcc
	v_add_co_u32_e32 v3, vcc, s4, v3
	v_addc_co_u32_e32 v4, vcc, 0, v4, vcc
	;; [unrolled: 2-line block ×3, first 2 shown]
	global_load_dwordx2 v[32:33], v[3:4], off offset:2992
	v_add_co_u32_e32 v3, vcc, s4, v5
	v_addc_co_u32_e32 v4, vcc, 0, v6, vcc
	global_load_dwordx2 v[34:35], v[3:4], off offset:2992
	ds_read2st64_b64 v[3:6], v64 offset0:30 offset1:32
	s_waitcnt vmcnt(11) lgkmcnt(0)
	v_mul_f32_e32 v36, v9, v4
	v_fmac_f32_e32 v36, v8, v3
	v_mul_f32_e32 v3, v9, v3
	v_fma_f32 v37, v8, v4, -v3
	ds_read2st64_b64 v[8:11], v64 offset0:34 offset1:36
	s_waitcnt vmcnt(10)
	v_mul_f32_e32 v38, v17, v6
	v_mul_f32_e32 v3, v17, v5
	v_fmac_f32_e32 v38, v16, v5
	v_fma_f32 v16, v16, v6, -v3
	s_waitcnt lgkmcnt(0)
	v_mul_f32_e32 v17, v13, v9
	v_mul_f32_e32 v3, v13, v8
	v_fmac_f32_e32 v17, v12, v8
	v_fma_f32 v12, v12, v9, -v3
	ds_read2st64_b64 v[3:6], v64 offset0:38 offset1:40
	v_mul_f32_e32 v13, v11, v15
	v_mul_f32_e32 v8, v10, v15
	v_fmac_f32_e32 v13, v10, v14
	v_fma_f32 v14, v11, v14, -v8
	ds_read2st64_b64 v[8:11], v64 offset0:42 offset1:44
	s_waitcnt vmcnt(9) lgkmcnt(1)
	v_mul_f32_e32 v15, v4, v19
	v_fmac_f32_e32 v15, v3, v18
	v_mul_f32_e32 v3, v3, v19
	v_fma_f32 v18, v4, v18, -v3
	s_waitcnt vmcnt(8)
	v_mul_f32_e32 v3, v5, v21
	s_waitcnt vmcnt(7) lgkmcnt(0)
	v_mul_f32_e32 v47, v9, v23
	v_fma_f32 v40, v6, v20, -v3
	v_fmac_f32_e32 v47, v8, v22
	v_mul_f32_e32 v3, v8, v23
	v_add_co_u32_e32 v8, vcc, s8, v73
	v_fma_f32 v48, v9, v22, -v3
	v_addc_co_u32_e32 v9, vcc, 0, v7, vcc
	v_add_co_u32_e32 v7, vcc, s4, v8
	v_mul_f32_e32 v39, v6, v21
	v_addc_co_u32_e32 v8, vcc, 0, v9, vcc
	v_fmac_f32_e32 v39, v5, v20
	global_load_dwordx2 v[19:20], v[7:8], off offset:2992
	s_waitcnt vmcnt(7)
	v_mul_f32_e32 v3, v10, v25
	v_fma_f32 v50, v11, v24, -v3
	ds_read2st64_b64 v[3:6], v64 offset0:46 offset1:48
	v_mul_f32_e32 v49, v11, v25
	v_fmac_f32_e32 v49, v10, v24
	ds_read2st64_b64 v[7:10], v64 offset0:50 offset1:52
	s_waitcnt vmcnt(5) lgkmcnt(1)
	v_mul_f32_e32 v53, v6, v27
	v_mul_f32_e32 v51, v4, v1
	v_mul_f32_e32 v1, v3, v1
	v_fmac_f32_e32 v51, v3, v0
	v_fma_f32 v52, v4, v0, -v1
	v_mul_f32_e32 v0, v5, v27
	v_fmac_f32_e32 v53, v5, v26
	v_fma_f32 v54, v6, v26, -v0
	s_waitcnt vmcnt(4) lgkmcnt(0)
	v_mul_f32_e32 v0, v7, v29
	ds_read2st64_b64 v[3:6], v64 offset0:54 offset1:56
	v_mul_f32_e32 v55, v8, v29
	v_fma_f32 v56, v8, v28, -v0
	s_waitcnt vmcnt(3)
	v_mul_f32_e32 v57, v10, v31
	v_mul_f32_e32 v0, v9, v31
	v_fmac_f32_e32 v55, v7, v28
	v_fmac_f32_e32 v57, v9, v30
	v_fma_f32 v58, v10, v30, -v0
	ds_read2st64_b64 v[7:10], v64 offset1:2
	s_waitcnt vmcnt(2) lgkmcnt(1)
	v_mul_f32_e32 v0, v3, v33
	v_fma_f32 v60, v4, v32, -v0
	s_waitcnt vmcnt(1)
	v_mul_f32_e32 v0, v5, v35
	v_mul_f32_e32 v59, v4, v33
	;; [unrolled: 1-line block ×3, first 2 shown]
	v_fma_f32 v67, v6, v34, -v0
	s_waitcnt lgkmcnt(0)
	v_sub_f32_e32 v0, v7, v36
	v_sub_f32_e32 v1, v8, v37
	;; [unrolled: 1-line block ×4, first 2 shown]
	v_fmac_f32_e32 v59, v3, v32
	v_fmac_f32_e32 v66, v5, v34
	ds_read2st64_b64 v[3:6], v64 offset0:4 offset1:6
	v_fma_f32 v23, v7, 2.0, -v0
	v_fma_f32 v24, v8, 2.0, -v1
	;; [unrolled: 1-line block ×4, first 2 shown]
	ds_read2st64_b64 v[7:10], v64 offset0:8 offset1:10
	s_waitcnt lgkmcnt(1)
	v_sub_f32_e32 v27, v3, v17
	v_sub_f32_e32 v28, v4, v12
	;; [unrolled: 1-line block ×4, first 2 shown]
	s_waitcnt lgkmcnt(0)
	v_sub_f32_e32 v35, v7, v15
	v_sub_f32_e32 v36, v8, v18
	;; [unrolled: 1-line block ×4, first 2 shown]
	v_fma_f32 v31, v3, 2.0, -v27
	v_fma_f32 v32, v4, 2.0, -v28
	;; [unrolled: 1-line block ×8, first 2 shown]
	ds_read_b64 v[43:44], v65
	ds_read_b64 v[45:46], v64 offset:29696
	ds_read2st64_b64 v[3:6], v64 offset0:12 offset1:16
	ds_read2st64_b64 v[7:10], v64 offset0:18 offset1:20
	;; [unrolled: 1-line block ×4, first 2 shown]
	s_waitcnt vmcnt(0) lgkmcnt(0)
	s_barrier
	ds_write2st64_b64 v64, v[23:24], v[25:26] offset1:2
	ds_write2st64_b64 v64, v[0:1], v[21:22] offset0:30 offset1:32
	ds_write2st64_b64 v64, v[31:32], v[33:34] offset0:4 offset1:6
	;; [unrolled: 1-line block ×5, first 2 shown]
	v_sub_f32_e32 v23, v3, v47
	v_sub_f32_e32 v24, v4, v48
	;; [unrolled: 1-line block ×4, first 2 shown]
	v_fma_f32 v3, v3, 2.0, -v23
	v_fma_f32 v4, v4, 2.0, -v24
	;; [unrolled: 1-line block ×4, first 2 shown]
	ds_write_b64 v64, v[3:4] offset:6144
	ds_write_b64 v64, v[23:24] offset:21504
	ds_write2st64_b64 v65, v[21:22], v[0:1] offset1:30
	v_mul_f32_e32 v0, v45, v20
	v_mul_f32_e32 v27, v46, v20
	v_fma_f32 v28, v46, v19, -v0
	v_sub_f32_e32 v0, v5, v51
	v_sub_f32_e32 v1, v6, v52
	v_fmac_f32_e32 v27, v45, v19
	v_fma_f32 v3, v5, 2.0, -v0
	v_fma_f32 v4, v6, 2.0, -v1
	v_sub_f32_e32 v5, v7, v53
	v_sub_f32_e32 v6, v8, v54
	;; [unrolled: 1-line block ×4, first 2 shown]
	v_fma_f32 v7, v7, 2.0, -v5
	v_fma_f32 v8, v8, 2.0, -v6
	v_sub_f32_e32 v21, v11, v57
	v_sub_f32_e32 v22, v12, v58
	;; [unrolled: 1-line block ×8, first 2 shown]
	v_fma_f32 v9, v9, 2.0, -v19
	v_fma_f32 v10, v10, 2.0, -v20
	;; [unrolled: 1-line block ×10, first 2 shown]
	ds_write2st64_b64 v64, v[3:4], v[7:8] offset0:16 offset1:18
	ds_write2st64_b64 v64, v[0:1], v[5:6] offset0:46 offset1:48
	;; [unrolled: 1-line block ×6, first 2 shown]
	ds_write_b64 v64, v[17:18] offset:14336
	ds_write_b64 v64, v[27:28] offset:29696
	s_waitcnt lgkmcnt(0)
	s_barrier
	s_and_saveexec_b64 s[4:5], s[0:1]
	s_cbranch_execz .LBB0_19
; %bb.18:
	v_lshl_add_u32 v7, v63, 3, 0
	v_mov_b32_e32 v64, v2
	ds_read2st64_b64 v[3:6], v7 offset1:2
	v_mov_b32_e32 v0, s3
	v_add_co_u32_e32 v8, vcc, s2, v61
	v_addc_co_u32_e32 v9, vcc, v0, v62, vcc
	v_lshlrev_b64 v[0:1], 3, v[63:64]
	v_add_co_u32_e32 v0, vcc, v8, v0
	v_addc_co_u32_e32 v1, vcc, v9, v1, vcc
	s_waitcnt lgkmcnt(0)
	global_store_dwordx2 v[0:1], v[3:4], off
	v_add_u32_e32 v1, 0x80, v63
	v_lshlrev_b64 v[0:1], 3, v[1:2]
	v_add_co_u32_e32 v0, vcc, v8, v0
	v_addc_co_u32_e32 v1, vcc, v9, v1, vcc
	global_store_dwordx2 v[0:1], v[5:6], off
	v_add_u32_e32 v1, 0x100, v63
	ds_read2st64_b64 v[3:6], v7 offset0:4 offset1:6
	v_lshlrev_b64 v[0:1], 3, v[1:2]
	v_add_co_u32_e32 v0, vcc, v8, v0
	v_addc_co_u32_e32 v1, vcc, v9, v1, vcc
	s_waitcnt lgkmcnt(0)
	global_store_dwordx2 v[0:1], v[3:4], off
	v_add_u32_e32 v1, 0x180, v63
	v_lshlrev_b64 v[0:1], 3, v[1:2]
	v_add_co_u32_e32 v0, vcc, v8, v0
	v_addc_co_u32_e32 v1, vcc, v9, v1, vcc
	global_store_dwordx2 v[0:1], v[5:6], off
	v_add_u32_e32 v1, 0x200, v63
	ds_read2st64_b64 v[3:6], v7 offset0:8 offset1:10
	v_lshlrev_b64 v[0:1], 3, v[1:2]
	v_add_co_u32_e32 v0, vcc, v8, v0
	v_addc_co_u32_e32 v1, vcc, v9, v1, vcc
	s_waitcnt lgkmcnt(0)
	global_store_dwordx2 v[0:1], v[3:4], off
	v_add_u32_e32 v1, 0x280, v63
	v_lshlrev_b64 v[0:1], 3, v[1:2]
	v_add_co_u32_e32 v0, vcc, v8, v0
	v_addc_co_u32_e32 v1, vcc, v9, v1, vcc
	global_store_dwordx2 v[0:1], v[5:6], off
	v_add_u32_e32 v1, 0x300, v63
	ds_read2st64_b64 v[3:6], v7 offset0:12 offset1:14
	v_lshlrev_b64 v[0:1], 3, v[1:2]
	v_add_co_u32_e32 v0, vcc, v8, v0
	v_addc_co_u32_e32 v1, vcc, v9, v1, vcc
	s_waitcnt lgkmcnt(0)
	global_store_dwordx2 v[0:1], v[3:4], off
	v_add_u32_e32 v1, 0x380, v63
	v_lshlrev_b64 v[0:1], 3, v[1:2]
	v_add_co_u32_e32 v0, vcc, v8, v0
	v_addc_co_u32_e32 v1, vcc, v9, v1, vcc
	global_store_dwordx2 v[0:1], v[5:6], off
	v_add_u32_e32 v1, 0x400, v63
	ds_read2st64_b64 v[3:6], v7 offset0:16 offset1:18
	v_lshlrev_b64 v[0:1], 3, v[1:2]
	v_add_co_u32_e32 v0, vcc, v8, v0
	v_addc_co_u32_e32 v1, vcc, v9, v1, vcc
	s_waitcnt lgkmcnt(0)
	global_store_dwordx2 v[0:1], v[3:4], off
	v_add_u32_e32 v1, 0x480, v63
	v_lshlrev_b64 v[0:1], 3, v[1:2]
	v_add_co_u32_e32 v0, vcc, v8, v0
	v_addc_co_u32_e32 v1, vcc, v9, v1, vcc
	global_store_dwordx2 v[0:1], v[5:6], off
	v_add_u32_e32 v1, 0x500, v63
	ds_read2st64_b64 v[3:6], v7 offset0:20 offset1:22
	v_lshlrev_b64 v[0:1], 3, v[1:2]
	v_add_co_u32_e32 v0, vcc, v8, v0
	v_addc_co_u32_e32 v1, vcc, v9, v1, vcc
	s_waitcnt lgkmcnt(0)
	global_store_dwordx2 v[0:1], v[3:4], off
	v_add_u32_e32 v1, 0x580, v63
	v_lshlrev_b64 v[0:1], 3, v[1:2]
	v_add_co_u32_e32 v0, vcc, v8, v0
	v_addc_co_u32_e32 v1, vcc, v9, v1, vcc
	global_store_dwordx2 v[0:1], v[5:6], off
	v_add_u32_e32 v1, 0x600, v63
	ds_read2st64_b64 v[3:6], v7 offset0:24 offset1:26
	v_lshlrev_b64 v[0:1], 3, v[1:2]
	v_add_co_u32_e32 v0, vcc, v8, v0
	v_addc_co_u32_e32 v1, vcc, v9, v1, vcc
	s_waitcnt lgkmcnt(0)
	global_store_dwordx2 v[0:1], v[3:4], off
	v_add_u32_e32 v1, 0x680, v63
	v_lshlrev_b64 v[0:1], 3, v[1:2]
	v_add_co_u32_e32 v0, vcc, v8, v0
	v_addc_co_u32_e32 v1, vcc, v9, v1, vcc
	global_store_dwordx2 v[0:1], v[5:6], off
	v_add_u32_e32 v1, 0x700, v63
	ds_read2st64_b64 v[3:6], v7 offset0:28 offset1:30
	v_lshlrev_b64 v[0:1], 3, v[1:2]
	v_add_co_u32_e32 v0, vcc, v8, v0
	v_addc_co_u32_e32 v1, vcc, v9, v1, vcc
	s_waitcnt lgkmcnt(0)
	global_store_dwordx2 v[0:1], v[3:4], off
	v_add_u32_e32 v1, 0x780, v63
	v_lshlrev_b64 v[0:1], 3, v[1:2]
	v_add_co_u32_e32 v0, vcc, v8, v0
	v_addc_co_u32_e32 v1, vcc, v9, v1, vcc
	global_store_dwordx2 v[0:1], v[5:6], off
	v_add_u32_e32 v1, 0x800, v63
	ds_read2st64_b64 v[3:6], v7 offset0:32 offset1:34
	v_lshlrev_b64 v[0:1], 3, v[1:2]
	v_add_co_u32_e32 v0, vcc, v8, v0
	v_addc_co_u32_e32 v1, vcc, v9, v1, vcc
	s_waitcnt lgkmcnt(0)
	global_store_dwordx2 v[0:1], v[3:4], off
	v_add_u32_e32 v1, 0x880, v63
	v_lshlrev_b64 v[0:1], 3, v[1:2]
	v_add_co_u32_e32 v0, vcc, v8, v0
	v_addc_co_u32_e32 v1, vcc, v9, v1, vcc
	global_store_dwordx2 v[0:1], v[5:6], off
	v_add_u32_e32 v1, 0x900, v63
	ds_read2st64_b64 v[3:6], v7 offset0:36 offset1:38
	v_lshlrev_b64 v[0:1], 3, v[1:2]
	v_add_co_u32_e32 v0, vcc, v8, v0
	v_addc_co_u32_e32 v1, vcc, v9, v1, vcc
	s_waitcnt lgkmcnt(0)
	global_store_dwordx2 v[0:1], v[3:4], off
	v_add_u32_e32 v1, 0x980, v63
	v_lshlrev_b64 v[0:1], 3, v[1:2]
	v_add_co_u32_e32 v0, vcc, v8, v0
	v_addc_co_u32_e32 v1, vcc, v9, v1, vcc
	global_store_dwordx2 v[0:1], v[5:6], off
	v_add_u32_e32 v1, 0xa00, v63
	ds_read2st64_b64 v[3:6], v7 offset0:40 offset1:42
	v_lshlrev_b64 v[0:1], 3, v[1:2]
	v_add_co_u32_e32 v0, vcc, v8, v0
	v_addc_co_u32_e32 v1, vcc, v9, v1, vcc
	s_waitcnt lgkmcnt(0)
	global_store_dwordx2 v[0:1], v[3:4], off
	v_add_u32_e32 v1, 0xa80, v63
	v_lshlrev_b64 v[0:1], 3, v[1:2]
	v_add_co_u32_e32 v0, vcc, v8, v0
	v_addc_co_u32_e32 v1, vcc, v9, v1, vcc
	global_store_dwordx2 v[0:1], v[5:6], off
	v_add_u32_e32 v1, 0xb00, v63
	ds_read2st64_b64 v[3:6], v7 offset0:44 offset1:46
	v_lshlrev_b64 v[0:1], 3, v[1:2]
	v_add_co_u32_e32 v0, vcc, v8, v0
	v_addc_co_u32_e32 v1, vcc, v9, v1, vcc
	s_waitcnt lgkmcnt(0)
	global_store_dwordx2 v[0:1], v[3:4], off
	v_add_u32_e32 v1, 0xb80, v63
	v_lshlrev_b64 v[0:1], 3, v[1:2]
	v_add_co_u32_e32 v0, vcc, v8, v0
	v_addc_co_u32_e32 v1, vcc, v9, v1, vcc
	global_store_dwordx2 v[0:1], v[5:6], off
	v_add_u32_e32 v1, 0xc00, v63
	ds_read2st64_b64 v[3:6], v7 offset0:48 offset1:50
	v_lshlrev_b64 v[0:1], 3, v[1:2]
	v_add_co_u32_e32 v0, vcc, v8, v0
	v_addc_co_u32_e32 v1, vcc, v9, v1, vcc
	s_waitcnt lgkmcnt(0)
	global_store_dwordx2 v[0:1], v[3:4], off
	v_add_u32_e32 v1, 0xc80, v63
	v_lshlrev_b64 v[0:1], 3, v[1:2]
	v_add_co_u32_e32 v0, vcc, v8, v0
	v_addc_co_u32_e32 v1, vcc, v9, v1, vcc
	global_store_dwordx2 v[0:1], v[5:6], off
	v_add_u32_e32 v1, 0xd00, v63
	ds_read2st64_b64 v[3:6], v7 offset0:52 offset1:54
	v_lshlrev_b64 v[0:1], 3, v[1:2]
	v_add_co_u32_e32 v0, vcc, v8, v0
	v_addc_co_u32_e32 v1, vcc, v9, v1, vcc
	s_waitcnt lgkmcnt(0)
	global_store_dwordx2 v[0:1], v[3:4], off
	v_add_u32_e32 v1, 0xd80, v63
	v_lshlrev_b64 v[0:1], 3, v[1:2]
	v_add_co_u32_e32 v0, vcc, v8, v0
	v_addc_co_u32_e32 v1, vcc, v9, v1, vcc
	global_store_dwordx2 v[0:1], v[5:6], off
	v_add_u32_e32 v1, 0xe00, v63
	ds_read2st64_b64 v[3:6], v7 offset0:56 offset1:58
	v_lshlrev_b64 v[0:1], 3, v[1:2]
	v_add_co_u32_e32 v0, vcc, v8, v0
	v_addc_co_u32_e32 v1, vcc, v9, v1, vcc
	s_waitcnt lgkmcnt(0)
	global_store_dwordx2 v[0:1], v[3:4], off
	v_add_u32_e32 v1, 0xe80, v63
	v_lshlrev_b64 v[0:1], 3, v[1:2]
	v_add_co_u32_e32 v0, vcc, v8, v0
	v_addc_co_u32_e32 v1, vcc, v9, v1, vcc
	global_store_dwordx2 v[0:1], v[5:6], off
.LBB0_19:
	s_endpgm
	.section	.rodata,"a",@progbits
	.p2align	6, 0x0
	.amdhsa_kernel fft_rtc_back_len3840_factors_10_6_2_2_2_2_2_2_wgs_128_tpt_128_halfLds_sp_ip_CI_unitstride_sbrr_C2R_dirReg
		.amdhsa_group_segment_fixed_size 0
		.amdhsa_private_segment_fixed_size 0
		.amdhsa_kernarg_size 88
		.amdhsa_user_sgpr_count 6
		.amdhsa_user_sgpr_private_segment_buffer 1
		.amdhsa_user_sgpr_dispatch_ptr 0
		.amdhsa_user_sgpr_queue_ptr 0
		.amdhsa_user_sgpr_kernarg_segment_ptr 1
		.amdhsa_user_sgpr_dispatch_id 0
		.amdhsa_user_sgpr_flat_scratch_init 0
		.amdhsa_user_sgpr_private_segment_size 0
		.amdhsa_uses_dynamic_stack 0
		.amdhsa_system_sgpr_private_segment_wavefront_offset 0
		.amdhsa_system_sgpr_workgroup_id_x 1
		.amdhsa_system_sgpr_workgroup_id_y 0
		.amdhsa_system_sgpr_workgroup_id_z 0
		.amdhsa_system_sgpr_workgroup_info 0
		.amdhsa_system_vgpr_workitem_id 0
		.amdhsa_next_free_vgpr 136
		.amdhsa_next_free_sgpr 22
		.amdhsa_reserve_vcc 1
		.amdhsa_reserve_flat_scratch 0
		.amdhsa_float_round_mode_32 0
		.amdhsa_float_round_mode_16_64 0
		.amdhsa_float_denorm_mode_32 3
		.amdhsa_float_denorm_mode_16_64 3
		.amdhsa_dx10_clamp 1
		.amdhsa_ieee_mode 1
		.amdhsa_fp16_overflow 0
		.amdhsa_exception_fp_ieee_invalid_op 0
		.amdhsa_exception_fp_denorm_src 0
		.amdhsa_exception_fp_ieee_div_zero 0
		.amdhsa_exception_fp_ieee_overflow 0
		.amdhsa_exception_fp_ieee_underflow 0
		.amdhsa_exception_fp_ieee_inexact 0
		.amdhsa_exception_int_div_zero 0
	.end_amdhsa_kernel
	.text
.Lfunc_end0:
	.size	fft_rtc_back_len3840_factors_10_6_2_2_2_2_2_2_wgs_128_tpt_128_halfLds_sp_ip_CI_unitstride_sbrr_C2R_dirReg, .Lfunc_end0-fft_rtc_back_len3840_factors_10_6_2_2_2_2_2_2_wgs_128_tpt_128_halfLds_sp_ip_CI_unitstride_sbrr_C2R_dirReg
                                        ; -- End function
	.section	.AMDGPU.csdata,"",@progbits
; Kernel info:
; codeLenInByte = 20000
; NumSgprs: 26
; NumVgprs: 136
; ScratchSize: 0
; MemoryBound: 0
; FloatMode: 240
; IeeeMode: 1
; LDSByteSize: 0 bytes/workgroup (compile time only)
; SGPRBlocks: 3
; VGPRBlocks: 33
; NumSGPRsForWavesPerEU: 26
; NumVGPRsForWavesPerEU: 136
; Occupancy: 1
; WaveLimiterHint : 1
; COMPUTE_PGM_RSRC2:SCRATCH_EN: 0
; COMPUTE_PGM_RSRC2:USER_SGPR: 6
; COMPUTE_PGM_RSRC2:TRAP_HANDLER: 0
; COMPUTE_PGM_RSRC2:TGID_X_EN: 1
; COMPUTE_PGM_RSRC2:TGID_Y_EN: 0
; COMPUTE_PGM_RSRC2:TGID_Z_EN: 0
; COMPUTE_PGM_RSRC2:TIDIG_COMP_CNT: 0
	.type	__hip_cuid_4c1ad19efc9510d6,@object ; @__hip_cuid_4c1ad19efc9510d6
	.section	.bss,"aw",@nobits
	.globl	__hip_cuid_4c1ad19efc9510d6
__hip_cuid_4c1ad19efc9510d6:
	.byte	0                               ; 0x0
	.size	__hip_cuid_4c1ad19efc9510d6, 1

	.ident	"AMD clang version 19.0.0git (https://github.com/RadeonOpenCompute/llvm-project roc-6.4.0 25133 c7fe45cf4b819c5991fe208aaa96edf142730f1d)"
	.section	".note.GNU-stack","",@progbits
	.addrsig
	.addrsig_sym __hip_cuid_4c1ad19efc9510d6
	.amdgpu_metadata
---
amdhsa.kernels:
  - .args:
      - .actual_access:  read_only
        .address_space:  global
        .offset:         0
        .size:           8
        .value_kind:     global_buffer
      - .offset:         8
        .size:           8
        .value_kind:     by_value
      - .actual_access:  read_only
        .address_space:  global
        .offset:         16
        .size:           8
        .value_kind:     global_buffer
      - .actual_access:  read_only
        .address_space:  global
        .offset:         24
        .size:           8
        .value_kind:     global_buffer
      - .offset:         32
        .size:           8
        .value_kind:     by_value
      - .actual_access:  read_only
        .address_space:  global
        .offset:         40
        .size:           8
        .value_kind:     global_buffer
      - .actual_access:  read_only
        .address_space:  global
        .offset:         48
        .size:           8
        .value_kind:     global_buffer
      - .offset:         56
        .size:           4
        .value_kind:     by_value
      - .actual_access:  read_only
        .address_space:  global
        .offset:         64
        .size:           8
        .value_kind:     global_buffer
      - .actual_access:  read_only
        .address_space:  global
        .offset:         72
        .size:           8
        .value_kind:     global_buffer
      - .address_space:  global
        .offset:         80
        .size:           8
        .value_kind:     global_buffer
    .group_segment_fixed_size: 0
    .kernarg_segment_align: 8
    .kernarg_segment_size: 88
    .language:       OpenCL C
    .language_version:
      - 2
      - 0
    .max_flat_workgroup_size: 128
    .name:           fft_rtc_back_len3840_factors_10_6_2_2_2_2_2_2_wgs_128_tpt_128_halfLds_sp_ip_CI_unitstride_sbrr_C2R_dirReg
    .private_segment_fixed_size: 0
    .sgpr_count:     26
    .sgpr_spill_count: 0
    .symbol:         fft_rtc_back_len3840_factors_10_6_2_2_2_2_2_2_wgs_128_tpt_128_halfLds_sp_ip_CI_unitstride_sbrr_C2R_dirReg.kd
    .uniform_work_group_size: 1
    .uses_dynamic_stack: false
    .vgpr_count:     136
    .vgpr_spill_count: 0
    .wavefront_size: 64
amdhsa.target:   amdgcn-amd-amdhsa--gfx906
amdhsa.version:
  - 1
  - 2
...

	.end_amdgpu_metadata
